;; amdgpu-corpus repo=ROCm/rocFFT kind=compiled arch=gfx906 opt=O3
	.text
	.amdgcn_target "amdgcn-amd-amdhsa--gfx906"
	.amdhsa_code_object_version 6
	.protected	fft_rtc_back_len2560_factors_4_4_4_10_4_wgs_128_tpt_128_halfLds_sp_op_CI_CI_sbrr_dirReg ; -- Begin function fft_rtc_back_len2560_factors_4_4_4_10_4_wgs_128_tpt_128_halfLds_sp_op_CI_CI_sbrr_dirReg
	.globl	fft_rtc_back_len2560_factors_4_4_4_10_4_wgs_128_tpt_128_halfLds_sp_op_CI_CI_sbrr_dirReg
	.p2align	8
	.type	fft_rtc_back_len2560_factors_4_4_4_10_4_wgs_128_tpt_128_halfLds_sp_op_CI_CI_sbrr_dirReg,@function
fft_rtc_back_len2560_factors_4_4_4_10_4_wgs_128_tpt_128_halfLds_sp_op_CI_CI_sbrr_dirReg: ; @fft_rtc_back_len2560_factors_4_4_4_10_4_wgs_128_tpt_128_halfLds_sp_op_CI_CI_sbrr_dirReg
; %bb.0:
	s_load_dwordx4 s[16:19], s[4:5], 0x18
	s_load_dwordx4 s[12:15], s[4:5], 0x0
	;; [unrolled: 1-line block ×3, first 2 shown]
	v_mov_b32_e32 v7, 0
	v_mov_b32_e32 v5, 0
	s_waitcnt lgkmcnt(0)
	s_load_dwordx2 s[20:21], s[16:17], 0x0
	s_load_dwordx2 s[2:3], s[18:19], 0x0
	v_cmp_lt_u64_e64 s[0:1], s[14:15], 2
	v_mov_b32_e32 v9, s6
	v_mov_b32_e32 v10, v7
	s_and_b64 vcc, exec, s[0:1]
	v_mov_b32_e32 v6, 0
	s_cbranch_vccnz .LBB0_8
; %bb.1:
	s_load_dwordx2 s[0:1], s[4:5], 0x10
	s_add_u32 s6, s18, 8
	s_addc_u32 s7, s19, 0
	s_add_u32 s22, s16, 8
	s_addc_u32 s23, s17, 0
	v_mov_b32_e32 v5, 0
	s_waitcnt lgkmcnt(0)
	s_add_u32 s24, s0, 8
	v_mov_b32_e32 v6, 0
	v_mov_b32_e32 v1, v5
	s_addc_u32 s25, s1, 0
	s_mov_b64 s[26:27], 1
	v_mov_b32_e32 v2, v6
.LBB0_2:                                ; =>This Inner Loop Header: Depth=1
	s_load_dwordx2 s[28:29], s[24:25], 0x0
                                        ; implicit-def: $vgpr3_vgpr4
	s_waitcnt lgkmcnt(0)
	v_or_b32_e32 v8, s29, v10
	v_cmp_ne_u64_e32 vcc, 0, v[7:8]
	s_and_saveexec_b64 s[0:1], vcc
	s_xor_b64 s[30:31], exec, s[0:1]
	s_cbranch_execz .LBB0_4
; %bb.3:                                ;   in Loop: Header=BB0_2 Depth=1
	v_cvt_f32_u32_e32 v3, s28
	v_cvt_f32_u32_e32 v4, s29
	s_sub_u32 s0, 0, s28
	s_subb_u32 s1, 0, s29
	v_mac_f32_e32 v3, 0x4f800000, v4
	v_rcp_f32_e32 v3, v3
	v_mul_f32_e32 v3, 0x5f7ffffc, v3
	v_mul_f32_e32 v4, 0x2f800000, v3
	v_trunc_f32_e32 v4, v4
	v_mac_f32_e32 v3, 0xcf800000, v4
	v_cvt_u32_f32_e32 v4, v4
	v_cvt_u32_f32_e32 v3, v3
	v_mul_lo_u32 v8, s0, v4
	v_mul_hi_u32 v11, s0, v3
	v_mul_lo_u32 v13, s1, v3
	v_mul_lo_u32 v12, s0, v3
	v_add_u32_e32 v8, v11, v8
	v_add_u32_e32 v8, v8, v13
	v_mul_hi_u32 v11, v3, v12
	v_mul_lo_u32 v13, v3, v8
	v_mul_hi_u32 v15, v3, v8
	v_mul_hi_u32 v14, v4, v12
	v_mul_lo_u32 v12, v4, v12
	v_mul_hi_u32 v16, v4, v8
	v_add_co_u32_e32 v11, vcc, v11, v13
	v_addc_co_u32_e32 v13, vcc, 0, v15, vcc
	v_mul_lo_u32 v8, v4, v8
	v_add_co_u32_e32 v11, vcc, v11, v12
	v_addc_co_u32_e32 v11, vcc, v13, v14, vcc
	v_addc_co_u32_e32 v12, vcc, 0, v16, vcc
	v_add_co_u32_e32 v8, vcc, v11, v8
	v_addc_co_u32_e32 v11, vcc, 0, v12, vcc
	v_add_co_u32_e32 v3, vcc, v3, v8
	v_addc_co_u32_e32 v4, vcc, v4, v11, vcc
	v_mul_lo_u32 v8, s0, v4
	v_mul_hi_u32 v11, s0, v3
	v_mul_lo_u32 v12, s1, v3
	v_mul_lo_u32 v13, s0, v3
	v_add_u32_e32 v8, v11, v8
	v_add_u32_e32 v8, v8, v12
	v_mul_lo_u32 v14, v3, v8
	v_mul_hi_u32 v15, v3, v13
	v_mul_hi_u32 v16, v3, v8
	;; [unrolled: 1-line block ×3, first 2 shown]
	v_mul_lo_u32 v13, v4, v13
	v_mul_hi_u32 v11, v4, v8
	v_add_co_u32_e32 v14, vcc, v15, v14
	v_addc_co_u32_e32 v15, vcc, 0, v16, vcc
	v_mul_lo_u32 v8, v4, v8
	v_add_co_u32_e32 v13, vcc, v14, v13
	v_addc_co_u32_e32 v12, vcc, v15, v12, vcc
	v_addc_co_u32_e32 v11, vcc, 0, v11, vcc
	v_add_co_u32_e32 v8, vcc, v12, v8
	v_addc_co_u32_e32 v11, vcc, 0, v11, vcc
	v_add_co_u32_e32 v8, vcc, v3, v8
	v_addc_co_u32_e32 v11, vcc, v4, v11, vcc
	v_mad_u64_u32 v[3:4], s[0:1], v9, v11, 0
	v_mul_hi_u32 v12, v9, v8
	v_add_co_u32_e32 v13, vcc, v12, v3
	v_addc_co_u32_e32 v14, vcc, 0, v4, vcc
	v_mad_u64_u32 v[3:4], s[0:1], v10, v8, 0
	v_mad_u64_u32 v[11:12], s[0:1], v10, v11, 0
	v_add_co_u32_e32 v3, vcc, v13, v3
	v_addc_co_u32_e32 v3, vcc, v14, v4, vcc
	v_addc_co_u32_e32 v4, vcc, 0, v12, vcc
	v_add_co_u32_e32 v8, vcc, v3, v11
	v_addc_co_u32_e32 v11, vcc, 0, v4, vcc
	v_mul_lo_u32 v12, s29, v8
	v_mul_lo_u32 v13, s28, v11
	v_mad_u64_u32 v[3:4], s[0:1], s28, v8, 0
	v_add3_u32 v4, v4, v13, v12
	v_sub_u32_e32 v12, v10, v4
	v_mov_b32_e32 v13, s29
	v_sub_co_u32_e32 v3, vcc, v9, v3
	v_subb_co_u32_e64 v12, s[0:1], v12, v13, vcc
	v_subrev_co_u32_e64 v13, s[0:1], s28, v3
	v_subbrev_co_u32_e64 v12, s[0:1], 0, v12, s[0:1]
	v_cmp_le_u32_e64 s[0:1], s29, v12
	v_cndmask_b32_e64 v14, 0, -1, s[0:1]
	v_cmp_le_u32_e64 s[0:1], s28, v13
	v_cndmask_b32_e64 v13, 0, -1, s[0:1]
	v_cmp_eq_u32_e64 s[0:1], s29, v12
	v_cndmask_b32_e64 v12, v14, v13, s[0:1]
	v_add_co_u32_e64 v13, s[0:1], 2, v8
	v_addc_co_u32_e64 v14, s[0:1], 0, v11, s[0:1]
	v_add_co_u32_e64 v15, s[0:1], 1, v8
	v_addc_co_u32_e64 v16, s[0:1], 0, v11, s[0:1]
	v_subb_co_u32_e32 v4, vcc, v10, v4, vcc
	v_cmp_ne_u32_e64 s[0:1], 0, v12
	v_cmp_le_u32_e32 vcc, s29, v4
	v_cndmask_b32_e64 v12, v16, v14, s[0:1]
	v_cndmask_b32_e64 v14, 0, -1, vcc
	v_cmp_le_u32_e32 vcc, s28, v3
	v_cndmask_b32_e64 v3, 0, -1, vcc
	v_cmp_eq_u32_e32 vcc, s29, v4
	v_cndmask_b32_e32 v3, v14, v3, vcc
	v_cmp_ne_u32_e32 vcc, 0, v3
	v_cndmask_b32_e64 v3, v15, v13, s[0:1]
	v_cndmask_b32_e32 v4, v11, v12, vcc
	v_cndmask_b32_e32 v3, v8, v3, vcc
.LBB0_4:                                ;   in Loop: Header=BB0_2 Depth=1
	s_andn2_saveexec_b64 s[0:1], s[30:31]
	s_cbranch_execz .LBB0_6
; %bb.5:                                ;   in Loop: Header=BB0_2 Depth=1
	v_cvt_f32_u32_e32 v3, s28
	s_sub_i32 s30, 0, s28
	v_rcp_iflag_f32_e32 v3, v3
	v_mul_f32_e32 v3, 0x4f7ffffe, v3
	v_cvt_u32_f32_e32 v3, v3
	v_mul_lo_u32 v4, s30, v3
	v_mul_hi_u32 v4, v3, v4
	v_add_u32_e32 v3, v3, v4
	v_mul_hi_u32 v3, v9, v3
	v_mul_lo_u32 v4, v3, s28
	v_add_u32_e32 v8, 1, v3
	v_sub_u32_e32 v4, v9, v4
	v_subrev_u32_e32 v11, s28, v4
	v_cmp_le_u32_e32 vcc, s28, v4
	v_cndmask_b32_e32 v4, v4, v11, vcc
	v_cndmask_b32_e32 v3, v3, v8, vcc
	v_add_u32_e32 v8, 1, v3
	v_cmp_le_u32_e32 vcc, s28, v4
	v_cndmask_b32_e32 v3, v3, v8, vcc
	v_mov_b32_e32 v4, v7
.LBB0_6:                                ;   in Loop: Header=BB0_2 Depth=1
	s_or_b64 exec, exec, s[0:1]
	v_mul_lo_u32 v8, v4, s28
	v_mul_lo_u32 v13, v3, s29
	v_mad_u64_u32 v[11:12], s[0:1], v3, s28, 0
	s_load_dwordx2 s[0:1], s[22:23], 0x0
	s_load_dwordx2 s[28:29], s[6:7], 0x0
	v_add3_u32 v8, v12, v13, v8
	v_sub_co_u32_e32 v9, vcc, v9, v11
	v_subb_co_u32_e32 v8, vcc, v10, v8, vcc
	s_waitcnt lgkmcnt(0)
	v_mul_lo_u32 v10, s0, v8
	v_mul_lo_u32 v11, s1, v9
	v_mad_u64_u32 v[5:6], s[0:1], s0, v9, v[5:6]
	v_mul_lo_u32 v8, s28, v8
	v_mul_lo_u32 v12, s29, v9
	v_mad_u64_u32 v[1:2], s[0:1], s28, v9, v[1:2]
	s_add_u32 s26, s26, 1
	s_addc_u32 s27, s27, 0
	s_add_u32 s6, s6, 8
	v_add3_u32 v2, v12, v2, v8
	s_addc_u32 s7, s7, 0
	v_mov_b32_e32 v8, s14
	s_add_u32 s22, s22, 8
	v_mov_b32_e32 v9, s15
	s_addc_u32 s23, s23, 0
	v_cmp_ge_u64_e32 vcc, s[26:27], v[8:9]
	s_add_u32 s24, s24, 8
	v_add3_u32 v6, v11, v6, v10
	s_addc_u32 s25, s25, 0
	s_cbranch_vccnz .LBB0_9
; %bb.7:                                ;   in Loop: Header=BB0_2 Depth=1
	v_mov_b32_e32 v10, v4
	v_mov_b32_e32 v9, v3
	s_branch .LBB0_2
.LBB0_8:
	v_mov_b32_e32 v1, v5
	v_mov_b32_e32 v3, v9
	;; [unrolled: 1-line block ×4, first 2 shown]
.LBB0_9:
	s_load_dwordx2 s[0:1], s[4:5], 0x28
	s_lshl_b64 s[14:15], s[14:15], 3
	s_add_u32 s4, s18, s14
	s_addc_u32 s5, s19, s15
                                        ; implicit-def: $sgpr18_sgpr19
                                        ; implicit-def: $vgpr46
                                        ; implicit-def: $vgpr47
                                        ; implicit-def: $vgpr48
                                        ; implicit-def: $vgpr49
	s_waitcnt lgkmcnt(0)
	v_cmp_gt_u64_e32 vcc, s[0:1], v[3:4]
	v_cmp_le_u64_e64 s[0:1], s[0:1], v[3:4]
	s_and_saveexec_b64 s[6:7], s[0:1]
	s_xor_b64 s[0:1], exec, s[6:7]
; %bb.10:
	v_or_b32_e32 v46, 0x80, v0
	v_or_b32_e32 v47, 0x100, v0
	;; [unrolled: 1-line block ×4, first 2 shown]
	s_mov_b64 s[18:19], 0
                                        ; implicit-def: $vgpr5_vgpr6
; %bb.11:
	s_or_saveexec_b64 s[6:7], s[0:1]
	v_mov_b32_e32 v27, s19
	v_mov_b32_e32 v45, s19
	;; [unrolled: 1-line block ×20, first 2 shown]
                                        ; implicit-def: $vgpr37
                                        ; implicit-def: $vgpr25
                                        ; implicit-def: $vgpr13
                                        ; implicit-def: $vgpr7
                                        ; implicit-def: $vgpr9
                                        ; implicit-def: $vgpr11
                                        ; implicit-def: $vgpr17
                                        ; implicit-def: $vgpr15
                                        ; implicit-def: $vgpr35
                                        ; implicit-def: $vgpr43
	s_xor_b64 exec, exec, s[6:7]
	s_cbranch_execz .LBB0_13
; %bb.12:
	s_add_u32 s0, s16, s14
	s_addc_u32 s1, s17, s15
	s_load_dwordx2 s[0:1], s[0:1], 0x0
	v_mad_u64_u32 v[7:8], s[14:15], s20, v0, 0
	v_lshlrev_b64 v[5:6], 3, v[5:6]
	v_or_b32_e32 v46, 0x80, v0
	s_waitcnt lgkmcnt(0)
	v_mul_lo_u32 v13, s1, v3
	v_mul_lo_u32 v14, s0, v4
	v_mad_u64_u32 v[9:10], s[0:1], s0, v3, 0
	v_or_b32_e32 v47, 0x100, v0
	v_or_b32_e32 v48, 0x180, v0
	v_mad_u64_u32 v[11:12], s[0:1], s21, v0, v[8:9]
	v_add3_u32 v10, v10, v14, v13
	v_lshlrev_b64 v[9:10], 3, v[9:10]
	v_mov_b32_e32 v8, v11
	v_mov_b32_e32 v11, s9
	v_add_co_u32_e64 v12, s[0:1], s8, v9
	v_or_b32_e32 v13, 0x280, v0
	v_addc_co_u32_e64 v11, s[0:1], v11, v10, s[0:1]
	v_mad_u64_u32 v[9:10], s[0:1], s20, v13, 0
	v_add_co_u32_e64 v14, s[0:1], v12, v5
	v_addc_co_u32_e64 v15, s[0:1], v11, v6, s[0:1]
	v_lshlrev_b64 v[5:6], 3, v[7:8]
	v_mov_b32_e32 v7, v10
	v_mad_u64_u32 v[7:8], s[0:1], s21, v13, v[7:8]
	v_or_b32_e32 v8, 0x500, v0
	v_mad_u64_u32 v[11:12], s[0:1], s20, v8, 0
	v_add_co_u32_e64 v16, s[0:1], v14, v5
	v_mov_b32_e32 v10, v7
	v_mov_b32_e32 v7, v12
	v_addc_co_u32_e64 v17, s[0:1], v15, v6, s[0:1]
	v_lshlrev_b64 v[5:6], 3, v[9:10]
	v_mad_u64_u32 v[7:8], s[0:1], s21, v8, v[7:8]
	v_or_b32_e32 v10, 0x780, v0
	v_mad_u64_u32 v[8:9], s[0:1], s20, v10, 0
	v_add_co_u32_e64 v22, s[0:1], v14, v5
	v_mov_b32_e32 v12, v7
	v_mov_b32_e32 v7, v9
	v_addc_co_u32_e64 v23, s[0:1], v15, v6, s[0:1]
	v_mad_u64_u32 v[9:10], s[0:1], s21, v10, v[7:8]
	v_lshlrev_b64 v[5:6], 3, v[11:12]
	v_mad_u64_u32 v[10:11], s[0:1], s20, v46, 0
	v_add_co_u32_e64 v28, s[0:1], v14, v5
	v_mov_b32_e32 v7, v11
	v_addc_co_u32_e64 v29, s[0:1], v15, v6, s[0:1]
	v_lshlrev_b64 v[5:6], 3, v[8:9]
	v_mad_u64_u32 v[7:8], s[0:1], s21, v46, v[7:8]
	v_or_b32_e32 v12, 0x300, v0
	v_mad_u64_u32 v[8:9], s[0:1], s20, v12, 0
	v_add_co_u32_e64 v50, s[0:1], v14, v5
	v_mov_b32_e32 v11, v7
	v_mov_b32_e32 v7, v9
	v_addc_co_u32_e64 v51, s[0:1], v15, v6, s[0:1]
	v_lshlrev_b64 v[5:6], 3, v[10:11]
	v_mad_u64_u32 v[9:10], s[0:1], s21, v12, v[7:8]
	v_or_b32_e32 v12, 0x580, v0
	v_mad_u64_u32 v[10:11], s[0:1], s20, v12, 0
	v_add_co_u32_e64 v52, s[0:1], v14, v5
	v_mov_b32_e32 v7, v11
	v_addc_co_u32_e64 v53, s[0:1], v15, v6, s[0:1]
	v_lshlrev_b64 v[5:6], 3, v[8:9]
	v_mad_u64_u32 v[7:8], s[0:1], s21, v12, v[7:8]
	v_or_b32_e32 v12, 0x800, v0
	v_mad_u64_u32 v[8:9], s[0:1], s20, v12, 0
	v_add_co_u32_e64 v54, s[0:1], v14, v5
	v_mov_b32_e32 v11, v7
	v_mov_b32_e32 v7, v9
	v_addc_co_u32_e64 v55, s[0:1], v15, v6, s[0:1]
	v_lshlrev_b64 v[5:6], 3, v[10:11]
	v_mad_u64_u32 v[9:10], s[0:1], s21, v12, v[7:8]
	v_mad_u64_u32 v[10:11], s[0:1], s20, v47, 0
	v_add_co_u32_e64 v56, s[0:1], v14, v5
	v_mov_b32_e32 v7, v11
	v_addc_co_u32_e64 v57, s[0:1], v15, v6, s[0:1]
	v_lshlrev_b64 v[5:6], 3, v[8:9]
	v_mad_u64_u32 v[7:8], s[0:1], s21, v47, v[7:8]
	v_or_b32_e32 v12, 0x380, v0
	v_mad_u64_u32 v[8:9], s[0:1], s20, v12, 0
	v_add_co_u32_e64 v58, s[0:1], v14, v5
	v_mov_b32_e32 v11, v7
	v_mov_b32_e32 v7, v9
	v_addc_co_u32_e64 v59, s[0:1], v15, v6, s[0:1]
	v_lshlrev_b64 v[5:6], 3, v[10:11]
	v_mad_u64_u32 v[9:10], s[0:1], s21, v12, v[7:8]
	v_or_b32_e32 v12, 0x600, v0
	v_mad_u64_u32 v[10:11], s[0:1], s20, v12, 0
	v_add_co_u32_e64 v60, s[0:1], v14, v5
	v_mov_b32_e32 v7, v11
	v_addc_co_u32_e64 v61, s[0:1], v15, v6, s[0:1]
	v_lshlrev_b64 v[5:6], 3, v[8:9]
	v_mad_u64_u32 v[7:8], s[0:1], s21, v12, v[7:8]
	v_or_b32_e32 v12, 0x880, v0
	v_mad_u64_u32 v[8:9], s[0:1], s20, v12, 0
	v_add_co_u32_e64 v62, s[0:1], v14, v5
	v_mov_b32_e32 v11, v7
	v_mov_b32_e32 v7, v9
	v_addc_co_u32_e64 v63, s[0:1], v15, v6, s[0:1]
	v_lshlrev_b64 v[5:6], 3, v[10:11]
	v_mad_u64_u32 v[9:10], s[0:1], s21, v12, v[7:8]
	;; [unrolled: 29-line block ×3, first 2 shown]
	v_or_b32_e32 v49, 0x200, v0
	v_mad_u64_u32 v[10:11], s[0:1], s20, v49, 0
	v_add_co_u32_e64 v72, s[0:1], v14, v5
	v_mov_b32_e32 v7, v11
	v_addc_co_u32_e64 v73, s[0:1], v15, v6, s[0:1]
	v_lshlrev_b64 v[5:6], 3, v[8:9]
	v_mad_u64_u32 v[7:8], s[0:1], s21, v49, v[7:8]
	v_or_b32_e32 v12, 0x480, v0
	v_mad_u64_u32 v[8:9], s[0:1], s20, v12, 0
	v_add_co_u32_e64 v74, s[0:1], v14, v5
	v_mov_b32_e32 v11, v7
	v_mov_b32_e32 v7, v9
	v_addc_co_u32_e64 v75, s[0:1], v15, v6, s[0:1]
	v_lshlrev_b64 v[5:6], 3, v[10:11]
	v_mad_u64_u32 v[9:10], s[0:1], s21, v12, v[7:8]
	v_or_b32_e32 v12, 0x700, v0
	v_mad_u64_u32 v[10:11], s[0:1], s20, v12, 0
	v_add_co_u32_e64 v76, s[0:1], v14, v5
	v_mov_b32_e32 v7, v11
	v_addc_co_u32_e64 v77, s[0:1], v15, v6, s[0:1]
	v_lshlrev_b64 v[5:6], 3, v[8:9]
	v_mad_u64_u32 v[7:8], s[0:1], s21, v12, v[7:8]
	v_or_b32_e32 v12, 0x980, v0
	v_mad_u64_u32 v[8:9], s[0:1], s20, v12, 0
	v_add_co_u32_e64 v78, s[0:1], v14, v5
	v_mov_b32_e32 v11, v7
	v_mov_b32_e32 v7, v9
	v_addc_co_u32_e64 v79, s[0:1], v15, v6, s[0:1]
	v_lshlrev_b64 v[5:6], 3, v[10:11]
	v_mad_u64_u32 v[9:10], s[0:1], s21, v12, v[7:8]
	v_add_co_u32_e64 v80, s[0:1], v14, v5
	v_addc_co_u32_e64 v81, s[0:1], v15, v6, s[0:1]
	v_lshlrev_b64 v[5:6], 3, v[8:9]
	v_add_co_u32_e64 v82, s[0:1], v14, v5
	v_addc_co_u32_e64 v83, s[0:1], v15, v6, s[0:1]
	global_load_dwordx2 v[26:27], v[16:17], off
	global_load_dwordx2 v[44:45], v[22:23], off
	;; [unrolled: 1-line block ×15, first 2 shown]
                                        ; kill: killed $vgpr72 killed $vgpr73
                                        ; kill: killed $vgpr50 killed $vgpr51
                                        ; kill: killed $vgpr16 killed $vgpr17
                                        ; kill: killed $vgpr58 killed $vgpr59
                                        ; kill: killed $vgpr52 killed $vgpr53
                                        ; kill: killed $vgpr66 killed $vgpr67
                                        ; kill: killed $vgpr22 killed $vgpr23
                                        ; kill: killed $vgpr60 killed $vgpr61
                                        ; kill: killed $vgpr54 killed $vgpr55
                                        ; kill: killed $vgpr68 killed $vgpr69
                                        ; kill: killed $vgpr28 killed $vgpr29
                                        ; kill: killed $vgpr62 killed $vgpr63
                                        ; kill: killed $vgpr56 killed $vgpr57
                                        ; kill: killed $vgpr70 killed $vgpr71
                                        ; kill: killed $vgpr64 killed $vgpr65
	global_load_dwordx2 v[16:17], v[74:75], off
	global_load_dwordx2 v[28:29], v[76:77], off
	;; [unrolled: 1-line block ×5, first 2 shown]
.LBB0_13:
	s_or_b64 exec, exec, s[6:7]
	s_waitcnt vmcnt(17)
	v_sub_f32_e32 v5, v26, v36
	v_sub_f32_e32 v50, v27, v37
	s_waitcnt vmcnt(16)
	v_sub_f32_e32 v51, v44, v42
	v_sub_f32_e32 v43, v45, v43
	v_fma_f32 v37, v26, 2.0, -v5
	v_fma_f32 v27, v27, 2.0, -v50
	;; [unrolled: 1-line block ×4, first 2 shown]
	v_sub_f32_e32 v26, v37, v26
	v_sub_f32_e32 v36, v27, v36
	v_fma_f32 v42, v37, 2.0, -v26
	v_fma_f32 v44, v27, 2.0, -v36
	v_add_f32_e32 v27, v5, v43
	v_sub_f32_e32 v37, v50, v51
	v_fma_f32 v43, v5, 2.0, -v27
	v_fma_f32 v45, v50, 2.0, -v37
	s_waitcnt vmcnt(13)
	v_sub_f32_e32 v5, v40, v24
	v_sub_f32_e32 v50, v41, v25
	v_fma_f32 v25, v40, 2.0, -v5
	v_fma_f32 v40, v41, 2.0, -v50
	s_waitcnt vmcnt(12)
	v_sub_f32_e32 v41, v38, v34
	v_fma_f32 v24, v38, 2.0, -v41
	v_sub_f32_e32 v35, v39, v35
	v_sub_f32_e32 v24, v25, v24
	v_fma_f32 v38, v25, 2.0, -v24
	v_add_f32_e32 v25, v5, v35
	v_fma_f32 v34, v39, 2.0, -v35
	v_fma_f32 v39, v5, 2.0, -v25
	s_waitcnt vmcnt(9)
	v_sub_f32_e32 v5, v32, v12
	v_sub_f32_e32 v51, v33, v13
	s_waitcnt vmcnt(8)
	v_sub_f32_e32 v15, v31, v15
	v_fma_f32 v13, v32, 2.0, -v5
	v_fma_f32 v32, v33, 2.0, -v51
	v_sub_f32_e32 v33, v30, v14
	v_fma_f32 v14, v31, 2.0, -v15
	v_sub_f32_e32 v35, v50, v41
	;; [unrolled: 2-line block ×4, first 2 shown]
	v_fma_f32 v50, v32, 2.0, -v14
	s_waitcnt vmcnt(5)
	v_sub_f32_e32 v32, v20, v6
	v_sub_f32_e32 v7, v21, v7
	v_fma_f32 v30, v13, 2.0, -v12
	v_add_f32_e32 v13, v5, v15
	v_fma_f32 v6, v20, 2.0, -v32
	v_fma_f32 v20, v21, 2.0, -v7
	s_waitcnt vmcnt(4)
	v_sub_f32_e32 v21, v18, v16
	v_fma_f32 v31, v5, 2.0, -v13
	v_fma_f32 v5, v18, 2.0, -v21
	v_sub_f32_e32 v17, v19, v17
	v_sub_f32_e32 v5, v6, v5
	;; [unrolled: 1-line block ×3, first 2 shown]
	v_fma_f32 v16, v19, 2.0, -v17
	v_fma_f32 v18, v6, 2.0, -v5
	v_add_f32_e32 v6, v32, v17
	v_sub_f32_e32 v17, v7, v21
	s_waitcnt vmcnt(1)
	v_sub_f32_e32 v33, v28, v8
	s_waitcnt vmcnt(0)
	v_sub_f32_e32 v10, v22, v10
	v_fma_f32 v21, v7, 2.0, -v17
	v_fma_f32 v8, v28, 2.0, -v33
	;; [unrolled: 1-line block ×3, first 2 shown]
	v_sub_f32_e32 v9, v29, v9
	v_sub_f32_e32 v11, v23, v11
	;; [unrolled: 1-line block ×3, first 2 shown]
	v_fma_f32 v19, v32, 2.0, -v6
	v_fma_f32 v28, v29, 2.0, -v9
	;; [unrolled: 1-line block ×4, first 2 shown]
	v_add_f32_e32 v8, v33, v11
	v_lshl_add_u32 v11, v0, 4, 0
	v_sub_f32_e32 v22, v28, v22
	v_sub_f32_e32 v23, v9, v10
	ds_write2_b64 v11, v[42:43], v[26:27] offset1:1
	v_lshl_add_u32 v27, v46, 4, 0
	v_lshl_add_u32 v29, v47, 4, 0
	v_sub_f32_e32 v34, v40, v34
	v_sub_f32_e32 v16, v20, v16
	v_fma_f32 v52, v28, 2.0, -v22
	v_fma_f32 v33, v33, 2.0, -v8
	;; [unrolled: 1-line block ×3, first 2 shown]
	ds_write2_b64 v27, v[38:39], v[24:25] offset1:1
	ds_write2_b64 v29, v[30:31], v[12:13] offset1:1
	v_lshl_add_u32 v9, v48, 4, 0
	v_lshl_add_u32 v10, v49, 4, 0
	v_mad_i32_i24 v28, v0, -12, v11
	v_mad_i32_i24 v30, v46, -12, v27
	s_load_dwordx2 s[0:1], s[4:5], 0x0
	v_fma_f32 v40, v40, 2.0, -v34
	v_fma_f32 v51, v51, 2.0, -v15
	;; [unrolled: 1-line block ×3, first 2 shown]
	ds_write2_b64 v9, v[18:19], v[5:6] offset1:1
	ds_write2_b64 v10, v[32:33], v[7:8] offset1:1
	s_waitcnt lgkmcnt(0)
	s_barrier
	ds_read2st64_b32 v[7:8], v28 offset1:10
	ds_read2st64_b32 v[18:19], v28 offset0:20 offset1:22
	ds_read2st64_b32 v[24:25], v28 offset0:28 offset1:30
	;; [unrolled: 1-line block ×4, first 2 shown]
	v_mad_i32_i24 v31, v47, -12, v29
	ds_read2st64_b32 v[54:55], v28 offset0:24 offset1:26
	v_mad_i32_i24 v32, v48, -12, v9
	ds_read2st64_b32 v[56:57], v28 offset0:16 offset1:18
	ds_read2st64_b32 v[58:59], v28 offset0:36 offset1:38
	v_mad_i32_i24 v33, v49, -12, v10
	ds_read_b32 v26, v30
	ds_read_b32 v60, v31
	;; [unrolled: 1-line block ×4, first 2 shown]
	s_waitcnt lgkmcnt(0)
	s_barrier
	ds_write2_b64 v11, v[44:45], v[36:37] offset1:1
	ds_write2_b64 v27, v[40:41], v[34:35] offset1:1
	;; [unrolled: 1-line block ×5, first 2 shown]
	v_and_b32_e32 v17, 3, v0
	v_mul_u32_u24_e32 v5, 3, v17
	v_lshlrev_b32_e32 v5, 3, v5
	s_waitcnt lgkmcnt(0)
	s_barrier
	global_load_dwordx4 v[11:14], v5, s[12:13]
	global_load_dwordx2 v[15:16], v5, s[12:13] offset:16
	ds_read2st64_b32 v[20:21], v28 offset1:10
	ds_read2st64_b32 v[22:23], v28 offset0:20 offset1:22
	ds_read2st64_b32 v[34:35], v28 offset0:28 offset1:30
	;; [unrolled: 1-line block ×5, first 2 shown]
	v_lshlrev_b32_e32 v6, 2, v0
	s_movk_i32 s4, 0x1f0
	v_lshlrev_b32_e32 v5, 2, v46
	s_waitcnt vmcnt(1) lgkmcnt(5)
	v_mul_f32_e32 v50, v21, v12
	v_fmac_f32_e32 v50, v8, v11
	v_mul_f32_e32 v8, v8, v12
	v_fma_f32 v21, v21, v11, -v8
	s_waitcnt lgkmcnt(4)
	v_mul_f32_e32 v8, v22, v14
	v_fmac_f32_e32 v8, v18, v13
	v_mul_f32_e32 v18, v18, v14
	v_fma_f32 v18, v22, v13, -v18
	v_mul_f32_e32 v22, v23, v14
	v_fmac_f32_e32 v22, v19, v13
	v_mul_f32_e32 v19, v19, v14
	v_fma_f32 v52, v23, v13, -v19
	v_mul_f32_e32 v19, v38, v12
	v_mul_f32_e32 v23, v39, v12
	s_waitcnt lgkmcnt(2)
	v_mul_f32_e32 v51, v36, v12
	v_fma_f32 v53, v36, v11, -v19
	v_mul_f32_e32 v19, v37, v12
	v_fma_f32 v63, v37, v11, -v23
	v_mul_f32_e32 v36, v54, v14
	v_mul_f32_e32 v37, v55, v14
	s_waitcnt lgkmcnt(1)
	v_mul_f32_e32 v23, v40, v14
	v_fma_f32 v40, v40, v13, -v36
	v_mul_f32_e32 v36, v41, v14
	v_fma_f32 v41, v41, v13, -v37
	v_mul_f32_e32 v37, v56, v12
	v_fmac_f32_e32 v51, v38, v11
	s_waitcnt lgkmcnt(0)
	v_mul_f32_e32 v38, v44, v12
	v_fma_f32 v44, v44, v11, -v37
	v_mul_f32_e32 v37, v45, v12
	v_mul_f32_e32 v12, v57, v12
	v_fmac_f32_e32 v19, v39, v11
	v_fmac_f32_e32 v38, v56, v11
	;; [unrolled: 1-line block ×3, first 2 shown]
	v_fma_f32 v45, v45, v11, -v12
	v_mul_f32_e32 v39, v34, v14
	v_mul_f32_e32 v11, v24, v14
	v_fmac_f32_e32 v23, v54, v13
	v_fmac_f32_e32 v36, v55, v13
	;; [unrolled: 1-line block ×3, first 2 shown]
	v_fma_f32 v54, v34, v13, -v11
	ds_read2st64_b32 v[11:12], v28 offset0:32 offset1:34
	ds_read2st64_b32 v[13:14], v28 offset0:36 offset1:38
	s_waitcnt vmcnt(0)
	v_mul_f32_e32 v24, v35, v16
	v_fmac_f32_e32 v24, v25, v15
	v_mul_f32_e32 v25, v25, v16
	v_fma_f32 v25, v35, v15, -v25
	v_mul_f32_e32 v35, v42, v16
	s_waitcnt lgkmcnt(1)
	v_mul_f32_e32 v34, v11, v16
	v_fma_f32 v35, v11, v15, -v35
	v_mul_f32_e32 v11, v43, v16
	v_fmac_f32_e32 v34, v42, v15
	v_mul_f32_e32 v42, v12, v16
	v_fma_f32 v12, v12, v15, -v11
	v_mul_f32_e32 v11, v58, v16
	v_fmac_f32_e32 v42, v43, v15
	s_waitcnt lgkmcnt(0)
	v_mul_f32_e32 v43, v13, v16
	v_fma_f32 v13, v13, v15, -v11
	v_mul_f32_e32 v55, v14, v16
	v_mul_f32_e32 v11, v59, v16
	v_sub_f32_e32 v8, v7, v8
	v_sub_f32_e32 v16, v50, v24
	v_fma_f32 v14, v14, v15, -v11
	v_fma_f32 v7, v7, 2.0, -v8
	v_sub_f32_e32 v24, v21, v25
	v_fma_f32 v11, v50, 2.0, -v16
	v_sub_f32_e32 v18, v20, v18
	v_sub_f32_e32 v25, v7, v11
	v_and_or_b32 v11, v6, s4, v17
	v_fma_f32 v20, v20, 2.0, -v18
	v_fma_f32 v21, v21, 2.0, -v24
	v_sub_f32_e32 v66, v18, v16
	v_sub_f32_e32 v16, v26, v22
	v_fmac_f32_e32 v55, v59, v15
	v_add_f32_e32 v50, v8, v24
	v_lshl_add_u32 v59, v11, 2, 0
	v_sub_f32_e32 v64, v20, v21
	v_fma_f32 v67, v18, 2.0, -v66
	v_fma_f32 v18, v26, 2.0, -v16
	v_sub_f32_e32 v26, v51, v34
	s_movk_i32 s4, 0x3f0
	v_fmac_f32_e32 v43, v58, v15
	ds_read_b32 v15, v30
	ds_read_b32 v56, v31
	;; [unrolled: 1-line block ×4, first 2 shown]
	v_fma_f32 v7, v7, 2.0, -v25
	s_waitcnt lgkmcnt(0)
	s_barrier
	v_fma_f32 v65, v20, 2.0, -v64
	v_sub_f32_e32 v68, v53, v35
	v_fma_f32 v20, v51, 2.0, -v26
	v_sub_f32_e32 v22, v60, v23
	v_sub_f32_e32 v42, v19, v42
	ds_write2_b32 v59, v25, v50 offset0:8 offset1:12
	v_sub_f32_e32 v25, v61, v36
	v_and_or_b32 v36, v5, s4, v17
	v_fma_f32 v8, v8, 2.0, -v50
	v_lshlrev_b32_e32 v11, 2, v47
	v_sub_f32_e32 v20, v18, v20
	v_add_f32_e32 v21, v16, v68
	v_fma_f32 v23, v60, 2.0, -v22
	v_sub_f32_e32 v12, v63, v12
	v_fma_f32 v19, v19, 2.0, -v42
	v_lshl_add_u32 v50, v36, 2, 0
	s_movk_i32 s4, 0x5f0
	ds_write2_b32 v59, v7, v8 offset1:4
	v_fma_f32 v18, v18, 2.0, -v20
	v_fma_f32 v16, v16, 2.0, -v21
	v_sub_f32_e32 v19, v23, v19
	v_add_f32_e32 v24, v22, v12
	v_sub_f32_e32 v43, v38, v43
	v_sub_f32_e32 v13, v44, v13
	ds_write2_b32 v50, v20, v21 offset0:8 offset1:12
	v_and_or_b32 v20, v11, s4, v17
	v_lshlrev_b32_e32 v8, 2, v48
	v_fma_f32 v23, v23, 2.0, -v19
	v_fma_f32 v22, v22, 2.0, -v24
	;; [unrolled: 1-line block ×4, first 2 shown]
	ds_write2_b32 v50, v18, v16 offset1:4
	v_add_f32_e32 v16, v25, v13
	v_sub_f32_e32 v51, v37, v55
	v_lshl_add_u32 v55, v20, 2, 0
	s_movk_i32 s4, 0x7f0
	v_sub_f32_e32 v35, v34, v35
	v_fma_f32 v18, v25, 2.0, -v16
	v_sub_f32_e32 v25, v62, v39
	ds_write2_b32 v55, v23, v22 offset1:4
	ds_write2_b32 v55, v19, v24 offset0:8 offset1:12
	v_and_or_b32 v19, v8, s4, v17
	v_fma_f32 v13, v44, 2.0, -v13
	v_sub_f32_e32 v44, v15, v52
	v_lshlrev_b32_e32 v7, 2, v49
	v_fma_f32 v34, v34, 2.0, -v35
	v_fma_f32 v36, v62, 2.0, -v25
	v_sub_f32_e32 v14, v45, v14
	v_fma_f32 v37, v37, 2.0, -v51
	v_lshl_add_u32 v60, v19, 2, 0
	s_movk_i32 s4, 0x9f0
	v_fma_f32 v53, v53, 2.0, -v68
	v_fma_f32 v15, v15, 2.0, -v44
	v_sub_f32_e32 v40, v56, v40
	v_sub_f32_e32 v41, v57, v41
	;; [unrolled: 1-line block ×4, first 2 shown]
	v_add_f32_e32 v38, v25, v14
	ds_write2_b32 v60, v34, v18 offset1:4
	ds_write2_b32 v60, v35, v16 offset0:8 offset1:12
	v_and_or_b32 v16, v7, s4, v17
	v_fma_f32 v12, v63, 2.0, -v12
	v_sub_f32_e32 v52, v15, v53
	v_sub_f32_e32 v26, v44, v26
	v_fma_f32 v53, v56, 2.0, -v40
	v_fma_f32 v56, v57, 2.0, -v41
	;; [unrolled: 1-line block ×6, first 2 shown]
	v_lshl_add_u32 v61, v16, 2, 0
	v_fma_f32 v15, v15, 2.0, -v52
	v_fma_f32 v44, v44, 2.0, -v26
	v_sub_f32_e32 v12, v53, v12
	v_sub_f32_e32 v42, v40, v42
	;; [unrolled: 1-line block ×6, first 2 shown]
	ds_write2_b32 v61, v36, v25 offset1:4
	ds_write2_b32 v61, v37, v38 offset0:8 offset1:12
	s_waitcnt lgkmcnt(0)
	s_barrier
	ds_read2st64_b32 v[16:17], v28 offset1:10
	ds_read2st64_b32 v[18:19], v28 offset0:20 offset1:22
	ds_read2st64_b32 v[20:21], v28 offset0:28 offset1:30
	;; [unrolled: 1-line block ×3, first 2 shown]
	ds_read_b32 v62, v30
	ds_read_b32 v69, v31
	;; [unrolled: 1-line block ×4, first 2 shown]
	ds_read2st64_b32 v[24:25], v28 offset0:32 offset1:34
	ds_read2st64_b32 v[34:35], v28 offset0:24 offset1:26
	;; [unrolled: 1-line block ×4, first 2 shown]
	s_waitcnt lgkmcnt(0)
	s_barrier
	ds_write2_b32 v59, v65, v67 offset1:4
	ds_write2_b32 v59, v64, v66 offset0:8 offset1:12
	v_fma_f32 v53, v53, 2.0, -v12
	v_fma_f32 v40, v40, 2.0, -v42
	;; [unrolled: 1-line block ×6, first 2 shown]
	ds_write2_b32 v50, v15, v44 offset1:4
	ds_write2_b32 v50, v52, v26 offset0:8 offset1:12
	ds_write2_b32 v55, v53, v40 offset1:4
	ds_write2_b32 v55, v12, v42 offset0:8 offset1:12
	;; [unrolled: 2-line block ×4, first 2 shown]
	v_and_b32_e32 v26, 15, v0
	v_mul_u32_u24_e32 v12, 3, v26
	v_lshlrev_b32_e32 v42, 3, v12
	s_waitcnt lgkmcnt(0)
	s_barrier
	global_load_dwordx4 v[12:15], v42, s[12:13] offset:96
	global_load_dwordx2 v[40:41], v42, s[12:13] offset:112
	ds_read2st64_b32 v[42:43], v28 offset1:10
	ds_read2st64_b32 v[44:45], v28 offset0:20 offset1:22
	ds_read2st64_b32 v[50:51], v28 offset0:28 offset1:30
	;; [unrolled: 1-line block ×5, first 2 shown]
	s_movk_i32 s4, 0x1c0
	v_and_or_b32 v6, v6, s4, v26
	s_movk_i32 s4, 0x3c0
	v_lshl_add_u32 v67, v6, 2, 0
	v_and_or_b32 v5, v5, s4, v26
	s_movk_i32 s4, 0x5c0
	s_waitcnt vmcnt(1) lgkmcnt(4)
	v_mul_f32_e32 v58, v44, v15
	v_fmac_f32_e32 v58, v18, v14
	v_mul_f32_e32 v18, v18, v15
	v_fma_f32 v18, v44, v14, -v18
	v_mul_f32_e32 v44, v45, v15
	v_fmac_f32_e32 v44, v19, v14
	v_mul_f32_e32 v19, v19, v15
	s_waitcnt lgkmcnt(2)
	v_mul_f32_e32 v59, v52, v13
	v_fma_f32 v19, v45, v14, -v19
	v_mul_f32_e32 v45, v53, v13
	v_fmac_f32_e32 v59, v22, v12
	v_mul_f32_e32 v22, v22, v13
	v_fmac_f32_e32 v45, v23, v12
	v_mul_f32_e32 v23, v23, v13
	v_fma_f32 v22, v52, v12, -v22
	v_fma_f32 v23, v53, v12, -v23
	s_waitcnt lgkmcnt(1)
	v_mul_f32_e32 v52, v54, v15
	v_mul_f32_e32 v53, v55, v15
	v_fmac_f32_e32 v52, v34, v14
	v_mul_f32_e32 v34, v34, v15
	v_fmac_f32_e32 v53, v35, v14
	v_mul_f32_e32 v35, v35, v15
	v_fma_f32 v34, v54, v14, -v34
	s_waitcnt lgkmcnt(0)
	v_mul_f32_e32 v54, v56, v13
	v_fma_f32 v35, v55, v14, -v35
	v_mul_f32_e32 v55, v57, v13
	v_fmac_f32_e32 v54, v36, v12
	v_mul_f32_e32 v36, v36, v13
	v_fmac_f32_e32 v55, v37, v12
	v_mul_f32_e32 v37, v37, v13
	v_mul_f32_e32 v60, v43, v13
	;; [unrolled: 1-line block ×3, first 2 shown]
	v_fmac_f32_e32 v60, v17, v12
	v_fma_f32 v36, v56, v12, -v36
	v_fma_f32 v37, v57, v12, -v37
	;; [unrolled: 1-line block ×3, first 2 shown]
	v_mul_f32_e32 v43, v50, v15
	v_mul_f32_e32 v12, v20, v15
	v_fmac_f32_e32 v43, v20, v14
	v_fma_f32 v20, v50, v14, -v12
	ds_read2st64_b32 v[12:13], v28 offset0:32 offset1:34
	s_waitcnt vmcnt(0)
	v_mul_f32_e32 v50, v51, v41
	v_mul_f32_e32 v14, v21, v41
	v_fmac_f32_e32 v50, v21, v40
	v_fma_f32 v21, v51, v40, -v14
	ds_read2st64_b32 v[14:15], v28 offset0:36 offset1:38
	s_waitcnt lgkmcnt(1)
	v_mul_f32_e32 v51, v12, v41
	v_mul_f32_e32 v56, v13, v41
	v_fmac_f32_e32 v51, v24, v40
	v_fmac_f32_e32 v56, v25, v40
	v_mul_f32_e32 v24, v24, v41
	v_mul_f32_e32 v25, v25, v41
	v_fma_f32 v12, v12, v40, -v24
	v_fma_f32 v13, v13, v40, -v25
	s_waitcnt lgkmcnt(0)
	v_mul_f32_e32 v24, v14, v41
	v_mul_f32_e32 v25, v15, v41
	v_fmac_f32_e32 v24, v38, v40
	v_fmac_f32_e32 v25, v39, v40
	v_mul_f32_e32 v38, v38, v41
	v_mul_f32_e32 v39, v39, v41
	v_sub_f32_e32 v18, v42, v18
	v_fma_f32 v14, v14, v40, -v38
	v_fma_f32 v15, v15, v40, -v39
	v_fma_f32 v39, v42, 2.0, -v18
	ds_read_b32 v40, v30
	ds_read_b32 v41, v31
	ds_read_b32 v42, v32
	ds_read_b32 v57, v33
	v_sub_f32_e32 v21, v17, v21
	v_sub_f32_e32 v38, v16, v58
	;; [unrolled: 1-line block ×3, first 2 shown]
	v_fma_f32 v17, v17, 2.0, -v21
	v_fma_f32 v16, v16, 2.0, -v38
	;; [unrolled: 1-line block ×3, first 2 shown]
	v_sub_f32_e32 v17, v39, v17
	s_waitcnt lgkmcnt(3)
	v_sub_f32_e32 v19, v40, v19
	v_sub_f32_e32 v12, v22, v12
	s_waitcnt lgkmcnt(2)
	v_sub_f32_e32 v34, v41, v34
	v_sub_f32_e32 v13, v23, v13
	;; [unrolled: 1-line block ×3, first 2 shown]
	v_fma_f32 v64, v39, 2.0, -v17
	v_add_f32_e32 v21, v38, v21
	v_sub_f32_e32 v39, v62, v44
	v_fma_f32 v40, v40, 2.0, -v19
	v_sub_f32_e32 v51, v59, v51
	v_fma_f32 v22, v22, 2.0, -v12
	v_fma_f32 v41, v41, 2.0, -v34
	;; [unrolled: 1-line block ×7, first 2 shown]
	v_sub_f32_e32 v65, v40, v22
	v_sub_f32_e32 v23, v41, v23
	;; [unrolled: 1-line block ×3, first 2 shown]
	v_fma_f32 v66, v40, 2.0, -v65
	v_sub_f32_e32 v40, v69, v52
	v_sub_f32_e32 v52, v45, v56
	v_fma_f32 v56, v41, 2.0, -v23
	v_sub_f32_e32 v41, v70, v53
	v_sub_f32_e32 v24, v54, v24
	;; [unrolled: 1-line block ×4, first 2 shown]
	s_waitcnt lgkmcnt(0)
	s_barrier
	ds_write2_b32 v67, v16, v38 offset1:16
	ds_write2_b32 v67, v58, v21 offset0:32 offset1:48
	v_lshl_add_u32 v16, v5, 2, 0
	v_and_or_b32 v5, v11, s4, v26
	s_movk_i32 s4, 0x7c0
	v_fma_f32 v22, v44, 2.0, -v59
	v_fma_f32 v44, v69, 2.0, -v40
	;; [unrolled: 1-line block ×3, first 2 shown]
	v_sub_f32_e32 v35, v42, v35
	v_fma_f32 v53, v70, 2.0, -v41
	v_sub_f32_e32 v14, v36, v14
	v_fma_f32 v54, v54, 2.0, -v24
	;; [unrolled: 2-line block ×4, first 2 shown]
	v_lshl_add_u32 v11, v5, 2, 0
	v_and_or_b32 v5, v8, s4, v26
	s_movk_i32 s4, 0x9c0
	v_sub_f32_e32 v50, v18, v50
	v_add_f32_e32 v12, v39, v12
	v_sub_f32_e32 v45, v44, v45
	v_add_f32_e32 v13, v40, v13
	v_fma_f32 v42, v42, 2.0, -v35
	v_fma_f32 v36, v36, 2.0, -v14
	v_sub_f32_e32 v54, v53, v54
	v_add_f32_e32 v14, v41, v14
	v_fma_f32 v57, v57, 2.0, -v20
	v_fma_f32 v37, v37, 2.0, -v15
	v_sub_f32_e32 v55, v60, v55
	v_add_f32_e32 v15, v43, v15
	v_lshl_add_u32 v8, v5, 2, 0
	v_and_or_b32 v5, v7, s4, v26
	v_fma_f32 v18, v18, 2.0, -v50
	v_sub_f32_e32 v51, v19, v51
	v_fma_f32 v39, v39, 2.0, -v12
	v_fma_f32 v44, v44, 2.0, -v45
	v_sub_f32_e32 v52, v34, v52
	v_fma_f32 v40, v40, 2.0, -v13
	v_sub_f32_e32 v36, v42, v36
	;; [unrolled: 2-line block ×5, first 2 shown]
	v_fma_f32 v43, v43, 2.0, -v15
	v_lshl_add_u32 v7, v5, 2, 0
	v_fma_f32 v19, v19, 2.0, -v51
	v_fma_f32 v34, v34, 2.0, -v52
	;; [unrolled: 1-line block ×6, first 2 shown]
	ds_write2_b32 v16, v22, v39 offset1:16
	ds_write2_b32 v16, v59, v12 offset0:32 offset1:48
	ds_write2_b32 v11, v44, v40 offset1:16
	ds_write2_b32 v11, v45, v13 offset0:32 offset1:48
	;; [unrolled: 2-line block ×4, first 2 shown]
	s_waitcnt lgkmcnt(0)
	s_barrier
	ds_read2st64_b32 v[5:6], v28 offset1:6
	ds_read2st64_b32 v[21:22], v28 offset0:10 offset1:12
	ds_read2st64_b32 v[38:39], v28 offset0:14 offset1:16
	;; [unrolled: 1-line block ×7, first 2 shown]
	ds_read_b32 v45, v33
	ds_read_b32 v53, v31
	;; [unrolled: 1-line block ×3, first 2 shown]
	ds_read_b32 v68, v28 offset:9728
	s_waitcnt lgkmcnt(0)
	s_barrier
	ds_write2_b32 v67, v64, v18 offset1:16
	ds_write2_b32 v67, v17, v50 offset0:32 offset1:48
	ds_write2_b32 v16, v66, v19 offset1:16
	ds_write2_b32 v16, v65, v51 offset0:32 offset1:48
	ds_write2_b32 v11, v56, v34 offset1:16
	ds_write2_b32 v11, v23, v52 offset0:32 offset1:48
	ds_write2_b32 v8, v42, v35 offset1:16
	ds_write2_b32 v8, v36, v24 offset0:32 offset1:48
	ds_write2_b32 v7, v57, v20 offset1:16
	ds_write2_b32 v7, v37, v25 offset0:32 offset1:48
	v_and_b32_e32 v11, 63, v0
	v_mul_u32_u24_e32 v7, 9, v11
	v_lshlrev_b32_e32 v7, 3, v7
	s_waitcnt lgkmcnt(0)
	s_barrier
	global_load_dwordx4 v[13:16], v7, s[12:13] offset:480
	global_load_dwordx4 v[23:26], v7, s[12:13] offset:496
	;; [unrolled: 1-line block ×4, first 2 shown]
	global_load_dwordx2 v[64:65], v7, s[12:13] offset:544
	ds_read_b32 v17, v31
	ds_read2st64_b32 v[7:8], v28 offset1:6
	ds_read_b32 v19, v33
	ds_read2st64_b32 v[50:51], v28 offset0:10 offset1:12
	ds_read_b32 v18, v30
	s_movk_i32 s4, 0x280
	s_waitcnt vmcnt(4)
	v_mul_f32_e32 v20, v53, v14
	s_waitcnt lgkmcnt(4)
	v_mul_f32_e32 v66, v17, v14
	v_fma_f32 v17, v17, v13, -v20
	v_mul_f32_e32 v20, v45, v16
	s_waitcnt lgkmcnt(2)
	v_mul_f32_e32 v67, v19, v16
	v_fma_f32 v69, v19, v15, -v20
	v_mul_f32_e32 v19, v8, v14
	v_fmac_f32_e32 v19, v6, v13
	v_mul_f32_e32 v6, v6, v14
	v_fmac_f32_e32 v67, v45, v15
	v_fma_f32 v20, v8, v13, -v6
	s_waitcnt lgkmcnt(1)
	v_mul_f32_e32 v45, v50, v16
	v_mul_f32_e32 v6, v21, v16
	v_fmac_f32_e32 v66, v53, v13
	v_fmac_f32_e32 v45, v21, v15
	v_fma_f32 v42, v50, v15, -v6
	ds_read2st64_b32 v[13:14], v28 offset0:14 offset1:16
	ds_read2st64_b32 v[15:16], v28 offset0:18 offset1:20
	s_waitcnt vmcnt(3)
	v_mul_f32_e32 v21, v39, v26
	v_mul_f32_e32 v6, v51, v24
	v_fmac_f32_e32 v6, v22, v23
	s_waitcnt lgkmcnt(1)
	v_mul_f32_e32 v70, v14, v26
	v_fmac_f32_e32 v70, v39, v25
	v_fma_f32 v39, v14, v25, -v21
	v_mul_f32_e32 v14, v38, v24
	v_mul_f32_e32 v8, v22, v24
	;; [unrolled: 1-line block ×3, first 2 shown]
	v_fma_f32 v21, v13, v23, -v14
	s_waitcnt lgkmcnt(0)
	v_mul_f32_e32 v52, v15, v26
	v_mul_f32_e32 v13, v40, v26
	v_fmac_f32_e32 v52, v40, v25
	v_fma_f32 v50, v15, v25, -v13
	ds_read2st64_b32 v[13:14], v28 offset0:22 offset1:24
	ds_read2st64_b32 v[24:25], v28 offset0:26 offset1:28
	s_waitcnt vmcnt(2)
	v_mul_f32_e32 v15, v41, v35
	v_fma_f32 v40, v16, v34, -v15
	v_mul_f32_e32 v15, v44, v37
	s_waitcnt lgkmcnt(1)
	v_mul_f32_e32 v71, v14, v37
	v_fma_f32 v72, v14, v36, -v15
	v_mul_f32_e32 v14, v43, v35
	v_fma_f32 v8, v51, v23, -v8
	v_fmac_f32_e32 v22, v38, v23
	v_mul_f32_e32 v26, v13, v35
	v_fma_f32 v23, v13, v34, -v14
	v_mul_f32_e32 v13, v58, v37
	s_waitcnt lgkmcnt(0)
	v_fma_f32 v53, v24, v36, -v13
	ds_read2st64_b32 v[13:14], v28 offset0:30 offset1:32
	s_waitcnt vmcnt(1)
	v_mul_f32_e32 v15, v59, v55
	v_mul_f32_e32 v38, v16, v35
	;; [unrolled: 1-line block ×4, first 2 shown]
	v_fma_f32 v25, v25, v54, -v15
	ds_read2st64_b32 v[15:16], v28 offset0:34 offset1:36
	v_fmac_f32_e32 v71, v44, v36
	v_fmac_f32_e32 v73, v58, v36
	v_mul_f32_e32 v36, v60, v55
	v_fmac_f32_e32 v38, v41, v34
	v_fmac_f32_e32 v26, v43, v34
	s_waitcnt lgkmcnt(1)
	v_mul_f32_e32 v43, v13, v55
	v_fma_f32 v41, v13, v54, -v36
	v_mul_f32_e32 v13, v62, v57
	s_waitcnt lgkmcnt(0)
	v_fma_f32 v55, v15, v56, -v13
	ds_read_b32 v13, v28 offset:9728
	v_mul_f32_e32 v35, v61, v57
	v_mul_f32_e32 v34, v14, v57
	v_fma_f32 v14, v14, v56, -v35
	s_waitcnt vmcnt(0)
	v_mul_f32_e32 v35, v63, v65
	v_fmac_f32_e32 v24, v59, v54
	v_fmac_f32_e32 v43, v60, v54
	v_mul_f32_e32 v54, v15, v57
	v_mul_f32_e32 v15, v16, v65
	v_fma_f32 v16, v16, v64, -v35
	v_mul_f32_e32 v35, v68, v65
	v_fmac_f32_e32 v34, v61, v56
	s_waitcnt lgkmcnt(0)
	v_mul_f32_e32 v51, v13, v65
	v_fma_f32 v44, v13, v64, -v35
	v_add_f32_e32 v13, v70, v71
	v_fma_f32 v35, -0.5, v13, v5
	v_sub_f32_e32 v13, v67, v70
	v_sub_f32_e32 v36, v34, v71
	v_add_f32_e32 v13, v13, v36
	v_sub_f32_e32 v36, v69, v14
	v_mov_b32_e32 v37, v35
	v_fmac_f32_e32 v54, v62, v56
	v_fmac_f32_e32 v37, 0xbf737871, v36
	v_sub_f32_e32 v56, v39, v72
	v_fmac_f32_e32 v35, 0x3f737871, v36
	v_fmac_f32_e32 v37, 0xbf167918, v56
	;; [unrolled: 1-line block ×3, first 2 shown]
	v_add_f32_e32 v57, v67, v34
	v_fmac_f32_e32 v37, 0x3e9e377a, v13
	v_fmac_f32_e32 v35, 0x3e9e377a, v13
	v_add_f32_e32 v13, v5, v67
	v_fmac_f32_e32 v5, -0.5, v57
	v_mov_b32_e32 v60, v5
	v_sub_f32_e32 v57, v70, v67
	v_sub_f32_e32 v58, v71, v34
	v_fmac_f32_e32 v60, 0x3f737871, v56
	v_fmac_f32_e32 v5, 0xbf737871, v56
	v_add_f32_e32 v57, v57, v58
	v_fmac_f32_e32 v60, 0xbf167918, v36
	v_fmac_f32_e32 v5, 0x3f167918, v36
	;; [unrolled: 1-line block ×4, first 2 shown]
	v_sub_f32_e32 v56, v69, v39
	v_sub_f32_e32 v57, v14, v72
	v_add_f32_e32 v13, v13, v70
	v_add_f32_e32 v56, v56, v57
	;; [unrolled: 1-line block ×4, first 2 shown]
	v_fma_f32 v57, -0.5, v57, v7
	v_add_f32_e32 v36, v13, v34
	v_sub_f32_e32 v13, v67, v34
	v_mov_b32_e32 v61, v57
	v_sub_f32_e32 v34, v70, v71
	v_fmac_f32_e32 v61, 0x3f737871, v13
	v_fmac_f32_e32 v57, 0xbf737871, v13
	;; [unrolled: 1-line block ×6, first 2 shown]
	v_add_f32_e32 v56, v7, v69
	v_add_f32_e32 v56, v56, v39
	;; [unrolled: 1-line block ×4, first 2 shown]
	v_fmac_f32_e32 v7, -0.5, v58
	v_sub_f32_e32 v39, v39, v69
	v_add_f32_e32 v56, v56, v14
	v_sub_f32_e32 v14, v72, v14
	v_add_f32_e32 v14, v39, v14
	v_mov_b32_e32 v39, v7
	v_fmac_f32_e32 v39, 0xbf737871, v34
	v_fmac_f32_e32 v7, 0x3f737871, v34
	;; [unrolled: 1-line block ×5, first 2 shown]
	v_add_f32_e32 v13, v38, v24
	v_fmac_f32_e32 v39, 0x3e9e377a, v14
	v_fmac_f32_e32 v7, 0x3e9e377a, v14
	v_fma_f32 v13, -0.5, v13, v66
	v_sub_f32_e32 v14, v6, v38
	v_sub_f32_e32 v34, v15, v24
	v_add_f32_e32 v14, v14, v34
	v_sub_f32_e32 v34, v8, v16
	v_mov_b32_e32 v58, v13
	v_fmac_f32_e32 v58, 0xbf737871, v34
	v_sub_f32_e32 v59, v40, v25
	v_fmac_f32_e32 v13, 0x3f737871, v34
	v_fmac_f32_e32 v58, 0xbf167918, v59
	;; [unrolled: 1-line block ×3, first 2 shown]
	v_add_f32_e32 v62, v6, v15
	v_fmac_f32_e32 v58, 0x3e9e377a, v14
	v_fmac_f32_e32 v13, 0x3e9e377a, v14
	v_add_f32_e32 v14, v66, v6
	v_fmac_f32_e32 v66, -0.5, v62
	v_sub_f32_e32 v62, v38, v6
	v_sub_f32_e32 v63, v24, v15
	v_add_f32_e32 v62, v62, v63
	v_mov_b32_e32 v63, v66
	v_add_f32_e32 v14, v14, v38
	v_fmac_f32_e32 v63, 0x3f737871, v59
	v_fmac_f32_e32 v66, 0xbf737871, v59
	v_add_f32_e32 v14, v14, v24
	v_fmac_f32_e32 v63, 0xbf167918, v34
	v_fmac_f32_e32 v66, 0x3f167918, v34
	v_add_f32_e32 v14, v14, v15
	v_sub_f32_e32 v6, v6, v15
	v_sub_f32_e32 v15, v38, v24
	v_sub_f32_e32 v24, v8, v40
	v_sub_f32_e32 v34, v16, v25
	v_add_f32_e32 v24, v24, v34
	v_add_f32_e32 v34, v40, v25
	v_fma_f32 v34, -0.5, v34, v17
	v_mov_b32_e32 v38, v34
	v_fmac_f32_e32 v38, 0x3f737871, v6
	v_fmac_f32_e32 v34, 0xbf737871, v6
	;; [unrolled: 1-line block ×6, first 2 shown]
	v_add_f32_e32 v24, v17, v8
	v_add_f32_e32 v24, v24, v40
	;; [unrolled: 1-line block ×4, first 2 shown]
	v_fmac_f32_e32 v17, -0.5, v59
	v_sub_f32_e32 v8, v40, v8
	v_add_f32_e32 v40, v24, v16
	v_sub_f32_e32 v16, v25, v16
	v_add_f32_e32 v8, v8, v16
	v_mov_b32_e32 v16, v17
	v_fmac_f32_e32 v17, 0x3f737871, v15
	v_fmac_f32_e32 v17, 0xbf167918, v6
	;; [unrolled: 1-line block ×6, first 2 shown]
	v_mul_f32_e32 v6, 0xbf737871, v17
	v_fmac_f32_e32 v16, 0x3e9e377a, v8
	v_fmac_f32_e32 v6, 0xbe9e377a, v66
	v_mul_f32_e32 v8, 0xbf167918, v38
	v_mul_f32_e32 v65, 0xbf4f1bbd, v34
	v_fmac_f32_e32 v63, 0x3e9e377a, v62
	v_add_f32_e32 v24, v36, v14
	v_add_f32_e32 v25, v5, v6
	v_sub_f32_e32 v5, v5, v6
	v_fmac_f32_e32 v8, 0x3f4f1bbd, v58
	v_mul_f32_e32 v38, 0x3f4f1bbd, v38
	v_mul_f32_e32 v62, 0xbf737871, v16
	v_fmac_f32_e32 v65, 0x3f167918, v13
	v_sub_f32_e32 v14, v36, v14
	v_add_f32_e32 v6, v56, v40
	v_sub_f32_e32 v36, v56, v40
	v_add_f32_e32 v56, v52, v73
	v_fmac_f32_e32 v51, v68, v64
	v_add_f32_e32 v59, v37, v8
	v_fmac_f32_e32 v38, 0x3f167918, v58
	v_fmac_f32_e32 v62, 0x3e9e377a, v63
	v_mul_f32_e32 v64, 0x3e9e377a, v16
	v_sub_f32_e32 v15, v37, v8
	v_add_f32_e32 v37, v57, v65
	v_sub_f32_e32 v40, v57, v65
	v_fma_f32 v57, -0.5, v56, v12
	v_fmac_f32_e32 v64, 0x3f737871, v63
	v_add_f32_e32 v58, v60, v62
	v_mul_f32_e32 v63, 0xbe9e377a, v17
	v_mul_f32_e32 v17, 0xbf167918, v34
	v_add_f32_e32 v8, v61, v38
	v_sub_f32_e32 v16, v60, v62
	v_sub_f32_e32 v38, v61, v38
	;; [unrolled: 1-line block ×3, first 2 shown]
	v_mov_b32_e32 v60, v57
	v_sub_f32_e32 v61, v45, v52
	v_sub_f32_e32 v62, v54, v73
	v_fmac_f32_e32 v63, 0x3f737871, v66
	v_fmac_f32_e32 v17, 0xbf4f1bbd, v13
	;; [unrolled: 1-line block ×3, first 2 shown]
	v_add_f32_e32 v61, v61, v62
	v_sub_f32_e32 v62, v50, v53
	v_fmac_f32_e32 v57, 0x3f737871, v56
	v_add_f32_e32 v13, v35, v17
	v_sub_f32_e32 v17, v35, v17
	v_add_f32_e32 v35, v7, v63
	v_sub_f32_e32 v7, v7, v63
	v_fmac_f32_e32 v60, 0xbf167918, v62
	v_fmac_f32_e32 v57, 0x3f167918, v62
	v_add_f32_e32 v63, v45, v54
	v_add_f32_e32 v34, v39, v64
	v_sub_f32_e32 v39, v39, v64
	v_fmac_f32_e32 v60, 0x3e9e377a, v61
	v_fmac_f32_e32 v57, 0x3e9e377a, v61
	v_add_f32_e32 v61, v12, v45
	v_fmac_f32_e32 v12, -0.5, v63
	v_sub_f32_e32 v63, v52, v45
	v_sub_f32_e32 v64, v73, v54
	v_add_f32_e32 v63, v63, v64
	v_mov_b32_e32 v64, v12
	v_fmac_f32_e32 v64, 0x3f737871, v62
	v_fmac_f32_e32 v12, 0xbf737871, v62
	v_fmac_f32_e32 v64, 0xbf167918, v56
	v_fmac_f32_e32 v12, 0x3f167918, v56
	v_add_f32_e32 v56, v61, v52
	v_add_f32_e32 v56, v56, v73
	;; [unrolled: 1-line block ×4, first 2 shown]
	v_fma_f32 v61, -0.5, v61, v18
	v_sub_f32_e32 v45, v45, v54
	v_sub_f32_e32 v54, v42, v50
	;; [unrolled: 1-line block ×3, first 2 shown]
	v_add_f32_e32 v54, v54, v62
	v_mov_b32_e32 v62, v61
	v_sub_f32_e32 v52, v52, v73
	v_fmac_f32_e32 v62, 0x3f737871, v45
	v_fmac_f32_e32 v61, 0xbf737871, v45
	;; [unrolled: 1-line block ×6, first 2 shown]
	v_add_f32_e32 v63, v42, v55
	v_fmac_f32_e32 v62, 0x3e9e377a, v54
	v_fmac_f32_e32 v61, 0x3e9e377a, v54
	v_add_f32_e32 v54, v18, v42
	v_fmac_f32_e32 v18, -0.5, v63
	v_mov_b32_e32 v63, v18
	v_add_f32_e32 v54, v54, v50
	v_sub_f32_e32 v42, v50, v42
	v_fmac_f32_e32 v63, 0xbf737871, v52
	v_sub_f32_e32 v50, v53, v55
	v_fmac_f32_e32 v18, 0x3f737871, v52
	v_fmac_f32_e32 v63, 0x3f167918, v45
	v_add_f32_e32 v42, v42, v50
	v_fmac_f32_e32 v18, 0xbf167918, v45
	v_fmac_f32_e32 v63, 0x3e9e377a, v42
	;; [unrolled: 1-line block ×3, first 2 shown]
	v_add_f32_e32 v42, v26, v43
	v_fma_f32 v42, -0.5, v42, v19
	v_add_f32_e32 v54, v54, v53
	v_sub_f32_e32 v45, v21, v44
	v_mov_b32_e32 v50, v42
	v_sub_f32_e32 v52, v22, v26
	v_sub_f32_e32 v53, v51, v43
	v_fmac_f32_e32 v50, 0xbf737871, v45
	v_add_f32_e32 v52, v52, v53
	v_sub_f32_e32 v53, v23, v41
	v_fmac_f32_e32 v42, 0x3f737871, v45
	v_add_f32_e32 v54, v54, v55
	v_fmac_f32_e32 v50, 0xbf167918, v53
	v_fmac_f32_e32 v42, 0x3f167918, v53
	v_add_f32_e32 v55, v22, v51
	v_fmac_f32_e32 v50, 0x3e9e377a, v52
	v_fmac_f32_e32 v42, 0x3e9e377a, v52
	v_add_f32_e32 v52, v19, v22
	v_fmac_f32_e32 v19, -0.5, v55
	v_sub_f32_e32 v55, v26, v22
	v_sub_f32_e32 v65, v43, v51
	v_add_f32_e32 v55, v55, v65
	v_mov_b32_e32 v65, v19
	v_fmac_f32_e32 v65, 0x3f737871, v53
	v_fmac_f32_e32 v19, 0xbf737871, v53
	;; [unrolled: 1-line block ×4, first 2 shown]
	v_add_f32_e32 v45, v52, v26
	v_add_f32_e32 v45, v45, v43
	v_add_f32_e32 v52, v23, v41
	v_add_f32_e32 v45, v45, v51
	v_fma_f32 v52, -0.5, v52, v20
	v_sub_f32_e32 v22, v22, v51
	v_sub_f32_e32 v26, v26, v43
	v_sub_f32_e32 v43, v21, v23
	v_sub_f32_e32 v51, v44, v41
	v_add_f32_e32 v43, v43, v51
	v_mov_b32_e32 v51, v52
	v_fmac_f32_e32 v51, 0x3f737871, v22
	v_fmac_f32_e32 v52, 0xbf737871, v22
	v_fmac_f32_e32 v51, 0x3f167918, v26
	v_fmac_f32_e32 v52, 0xbf167918, v26
	v_fmac_f32_e32 v51, 0x3e9e377a, v43
	v_fmac_f32_e32 v52, 0x3e9e377a, v43
	v_add_f32_e32 v43, v20, v21
	v_add_f32_e32 v53, v21, v44
	;; [unrolled: 1-line block ×3, first 2 shown]
	v_fmac_f32_e32 v20, -0.5, v53
	v_add_f32_e32 v43, v43, v41
	v_add_f32_e32 v53, v43, v44
	v_mov_b32_e32 v43, v20
	v_sub_f32_e32 v21, v23, v21
	v_fmac_f32_e32 v43, 0xbf737871, v26
	v_sub_f32_e32 v23, v41, v44
	v_fmac_f32_e32 v43, 0x3f167918, v22
	v_add_f32_e32 v21, v21, v23
	v_fmac_f32_e32 v20, 0x3f737871, v26
	v_fmac_f32_e32 v43, 0x3e9e377a, v21
	;; [unrolled: 1-line block ×5, first 2 shown]
	v_mul_f32_e32 v44, 0xbf167918, v51
	v_mul_f32_e32 v66, 0xbf737871, v43
	;; [unrolled: 1-line block ×4, first 2 shown]
	v_fmac_f32_e32 v19, 0x3e9e377a, v55
	v_fmac_f32_e32 v44, 0x3f4f1bbd, v50
	v_fmac_f32_e32 v66, 0x3e9e377a, v65
	v_fmac_f32_e32 v51, 0x3f167918, v50
	v_mul_f32_e32 v50, 0xbf737871, v20
	v_fmac_f32_e32 v67, 0x3f737871, v65
	v_mul_f32_e32 v65, 0xbe9e377a, v20
	v_fmac_f32_e32 v50, 0xbe9e377a, v19
	v_fmac_f32_e32 v65, 0x3f737871, v19
	v_add_f32_e32 v22, v60, v44
	v_add_f32_e32 v26, v12, v50
	;; [unrolled: 1-line block ×3, first 2 shown]
	v_sub_f32_e32 v55, v60, v44
	v_sub_f32_e32 v12, v12, v50
	v_add_f32_e32 v44, v18, v65
	v_sub_f32_e32 v50, v54, v53
	v_sub_f32_e32 v53, v18, v65
	v_lshrrev_b32_e32 v18, 6, v0
	v_mul_u32_u24_e32 v18, 0x280, v18
	v_or_b32_e32 v18, v18, v11
	v_lshl_add_u32 v60, v18, 2, 0
	v_lshrrev_b32_e32 v18, 6, v46
	v_mul_lo_u32 v18, v18, s4
	v_mul_f32_e32 v68, 0xbf167918, v52
	v_fmac_f32_e32 v68, 0xbf4f1bbd, v42
	s_barrier
	ds_write2st64_b32 v60, v24, v59 offset1:1
	ds_write2st64_b32 v60, v58, v25 offset0:2 offset1:3
	ds_write2st64_b32 v60, v13, v14 offset0:4 offset1:5
	;; [unrolled: 1-line block ×4, first 2 shown]
	v_or_b32_e32 v5, v18, v11
	v_add_f32_e32 v21, v56, v45
	v_add_f32_e32 v23, v64, v66
	;; [unrolled: 1-line block ×3, first 2 shown]
	v_sub_f32_e32 v20, v56, v45
	v_lshl_add_u32 v58, v5, 2, 0
	v_sub_f32_e32 v56, v64, v66
	v_sub_f32_e32 v57, v57, v68
	ds_write2st64_b32 v58, v21, v22 offset1:1
	ds_write2st64_b32 v58, v23, v26 offset0:2 offset1:3
	ds_write2st64_b32 v58, v19, v20 offset0:4 offset1:5
	;; [unrolled: 1-line block ×4, first 2 shown]
	s_waitcnt lgkmcnt(0)
	s_barrier
	ds_read2st64_b32 v[13:14], v28 offset1:10
	ds_read2st64_b32 v[17:18], v28 offset0:20 offset1:22
	ds_read2st64_b32 v[15:16], v28 offset0:28 offset1:30
	;; [unrolled: 1-line block ×7, first 2 shown]
	ds_read_b32 v30, v30
	ds_read_b32 v31, v31
	;; [unrolled: 1-line block ×4, first 2 shown]
	v_mul_f32_e32 v69, 0xbf4f1bbd, v52
	v_fmac_f32_e32 v69, 0x3f167918, v42
	v_add_f32_e32 v42, v62, v51
	v_add_f32_e32 v43, v63, v67
	;; [unrolled: 1-line block ×3, first 2 shown]
	v_sub_f32_e32 v51, v62, v51
	v_sub_f32_e32 v52, v63, v67
	;; [unrolled: 1-line block ×3, first 2 shown]
	s_waitcnt lgkmcnt(0)
	s_barrier
	ds_write2st64_b32 v60, v6, v8 offset1:1
	ds_write2st64_b32 v60, v34, v35 offset0:2 offset1:3
	ds_write2st64_b32 v60, v37, v36 offset0:4 offset1:5
	;; [unrolled: 1-line block ×4, first 2 shown]
	ds_write2st64_b32 v58, v41, v42 offset1:1
	ds_write2st64_b32 v58, v43, v44 offset0:2 offset1:3
	ds_write2st64_b32 v58, v45, v50 offset0:4 offset1:5
	;; [unrolled: 1-line block ×4, first 2 shown]
	s_waitcnt lgkmcnt(0)
	s_barrier
	s_and_saveexec_b64 s[4:5], vcc
	s_cbranch_execz .LBB0_15
; %bb.14:
	v_mul_i32_i24_e32 v50, 3, v49
	v_mov_b32_e32 v51, 0
	v_lshlrev_b64 v[6:7], 3, v[50:51]
	v_mov_b32_e32 v64, s13
	v_add_co_u32_e32 v8, vcc, s12, v6
	v_addc_co_u32_e32 v37, vcc, v64, v7, vcc
	s_movk_i32 s5, 0x1000
	v_add_co_u32_e32 v6, vcc, s5, v8
	s_movk_i32 s4, 0x13e0
	v_addc_co_u32_e32 v7, vcc, 0, v37, vcc
	global_load_dwordx4 v[33:36], v[6:7], off offset:992
	v_add_co_u32_e32 v6, vcc, s4, v8
	v_addc_co_u32_e32 v7, vcc, 0, v37, vcc
	v_mul_i32_i24_e32 v50, 3, v48
	global_load_dwordx2 v[6:7], v[6:7], off offset:16
	v_lshlrev_b64 v[37:38], 3, v[50:51]
	v_mul_i32_i24_e32 v45, -12, v48
	v_add_co_u32_e32 v8, vcc, s12, v37
	v_addc_co_u32_e32 v42, vcc, v64, v38, vcc
	v_add_co_u32_e32 v37, vcc, s5, v8
	v_addc_co_u32_e32 v38, vcc, 0, v42, vcc
	global_load_dwordx4 v[37:40], v[37:38], off offset:992
	v_add_co_u32_e32 v41, vcc, s4, v8
	v_addc_co_u32_e32 v42, vcc, 0, v42, vcc
	global_load_dwordx2 v[52:53], v[41:42], off offset:16
	v_mul_i32_i24_e32 v8, -12, v49
	v_mul_lo_u32 v41, s1, v3
	v_mul_lo_u32 v42, s0, v4
	v_mad_u64_u32 v[48:49], s[0:1], s0, v3, 0
	v_add_u32_e32 v3, v10, v8
	v_mul_i32_i24_e32 v50, 3, v47
	ds_read2st64_b32 v[54:55], v28 offset0:28 offset1:30
	ds_read2st64_b32 v[56:57], v28 offset0:16 offset1:18
	;; [unrolled: 1-line block ×3, first 2 shown]
	ds_read_b32 v8, v3
	v_lshlrev_b64 v[3:4], 3, v[50:51]
	v_add3_u32 v49, v49, v42, v41
	v_add_co_u32_e32 v10, vcc, s12, v3
	v_addc_co_u32_e32 v41, vcc, v64, v4, vcc
	v_add_co_u32_e32 v3, vcc, s4, v10
	v_addc_co_u32_e32 v4, vcc, 0, v41, vcc
	;; [unrolled: 2-line block ×3, first 2 shown]
	v_mul_i32_i24_e32 v65, -12, v47
	global_load_dwordx4 v[41:44], v[60:61], off offset:992
	global_load_dwordx2 v[62:63], v[3:4], off offset:16
	v_add_u32_e32 v9, v9, v45
	v_mul_i32_i24_e32 v50, 3, v46
	v_mul_i32_i24_e32 v67, -12, v46
	s_mov_b32 s0, 0xcccccccd
	v_lshlrev_b64 v[1:2], 3, v[1:2]
	s_movk_i32 s1, 0xa00
	s_waitcnt vmcnt(5)
	v_mul_f32_e32 v3, v15, v36
	s_waitcnt lgkmcnt(2)
	v_mul_f32_e32 v47, v34, v57
	v_mul_f32_e32 v10, v54, v36
	;; [unrolled: 1-line block ×3, first 2 shown]
	v_fma_f32 v3, v35, v54, -v3
	v_fmac_f32_e32 v47, v26, v33
	s_waitcnt vmcnt(4) lgkmcnt(1)
	v_mul_f32_e32 v4, v7, v59
	v_mul_f32_e32 v7, v12, v7
	v_fmac_f32_e32 v4, v12, v6
	v_fmac_f32_e32 v10, v15, v35
	v_fma_f32 v12, v33, v57, -v34
	v_fma_f32 v6, v6, v59, -v7
	s_waitcnt lgkmcnt(0)
	v_sub_f32_e32 v7, v8, v3
	v_sub_f32_e32 v15, v47, v4
	;; [unrolled: 1-line block ×5, first 2 shown]
	v_add_f32_e32 v3, v10, v6
	v_fma_f32 v6, v12, 2.0, -v6
	v_fma_f32 v12, v5, 2.0, -v10
	;; [unrolled: 1-line block ×3, first 2 shown]
	ds_read2st64_b32 v[59:60], v28 offset0:24 offset1:26
	ds_read_b32 v15, v9
	v_sub_f32_e32 v5, v12, v5
	v_fma_f32 v9, v12, 2.0, -v5
	s_waitcnt vmcnt(3)
	v_mul_f32_e32 v12, v24, v40
	v_lshlrev_b64 v[33:34], 3, v[50:51]
	v_fma_f32 v26, v8, 2.0, -v7
	s_waitcnt lgkmcnt(1)
	v_fma_f32 v12, v39, v60, -v12
	v_sub_f32_e32 v6, v26, v6
	s_waitcnt lgkmcnt(0)
	v_sub_f32_e32 v47, v15, v12
	v_add_co_u32_e32 v12, vcc, s12, v33
	v_fma_f32 v8, v7, 2.0, -v4
	v_fma_f32 v7, v10, 2.0, -v3
	;; [unrolled: 1-line block ×3, first 2 shown]
	v_addc_co_u32_e32 v26, vcc, v64, v34, vcc
	v_add_co_u32_e32 v33, vcc, s5, v12
	v_addc_co_u32_e32 v34, vcc, 0, v26, vcc
	v_add_co_u32_e32 v45, vcc, s4, v12
	v_addc_co_u32_e32 v46, vcc, 0, v26, vcc
	s_waitcnt vmcnt(2)
	v_mul_f32_e32 v12, v53, v58
	v_mul_f32_e32 v40, v60, v40
	global_load_dwordx4 v[33:36], v[33:34], off offset:992
	v_fmac_f32_e32 v12, v11, v52
	global_load_dwordx2 v[45:46], v[45:46], off offset:16
	v_fmac_f32_e32 v40, v24, v39
	v_mul_f32_e32 v24, v25, v38
	v_mul_f32_e32 v11, v11, v53
	;; [unrolled: 1-line block ×3, first 2 shown]
	v_fma_f32 v56, v37, v56, -v24
	v_fma_f32 v11, v52, v58, -v11
	v_sub_f32_e32 v52, v56, v11
	v_mul_u32_u24_e32 v11, 3, v0
	v_lshlrev_b32_e32 v11, 3, v11
	v_add_co_u32_e32 v11, vcc, s12, v11
	v_addc_co_u32_e32 v50, vcc, 0, v64, vcc
	v_add_co_u32_e32 v24, vcc, s5, v11
	v_fmac_f32_e32 v54, v25, v37
	v_addc_co_u32_e32 v25, vcc, 0, v50, vcc
	v_sub_f32_e32 v60, v32, v40
	global_load_dwordx4 v[37:40], v[24:25], off offset:992
	v_add_co_u32_e32 v24, vcc, s4, v11
	v_addc_co_u32_e32 v25, vcc, 0, v50, vcc
	global_load_dwordx2 v[50:51], v[24:25], off offset:16
	v_fma_f32 v15, v15, 2.0, -v47
	v_fma_f32 v24, v56, 2.0, -v52
	v_sub_f32_e32 v61, v54, v12
	v_sub_f32_e32 v53, v15, v24
	v_fma_f32 v57, v15, 2.0, -v53
	v_fma_f32 v15, v32, 2.0, -v60
	;; [unrolled: 1-line block ×3, first 2 shown]
	v_add_f32_e32 v11, v60, v52
	v_sub_f32_e32 v52, v15, v24
	v_fma_f32 v56, v15, 2.0, -v52
	v_add_u32_e32 v15, v29, v65
	v_sub_f32_e32 v12, v47, v61
	v_fma_f32 v25, v60, 2.0, -v11
	ds_read_b32 v15, v15
	ds_read2st64_b32 v[60:61], v28 offset0:12 offset1:14
	ds_read2st64_b32 v[64:65], v28 offset0:32 offset1:34
	s_waitcnt vmcnt(5)
	v_mul_f32_e32 v24, v23, v44
	v_fma_f32 v24, v43, v59, -v24
	v_fma_f32 v26, v47, 2.0, -v12
	s_waitcnt lgkmcnt(2)
	v_sub_f32_e32 v29, v15, v24
	s_waitcnt lgkmcnt(1)
	v_mul_f32_e32 v47, v42, v61
	s_waitcnt vmcnt(4) lgkmcnt(0)
	v_mul_f32_e32 v24, v63, v65
	v_fmac_f32_e32 v47, v22, v41
	v_fmac_f32_e32 v24, v20, v62
	v_mul_f32_e32 v32, v59, v44
	v_mul_f32_e32 v22, v22, v42
	;; [unrolled: 1-line block ×3, first 2 shown]
	v_fmac_f32_e32 v32, v23, v43
	v_fma_f32 v22, v41, v61, -v22
	v_fma_f32 v20, v62, v65, -v20
	v_sub_f32_e32 v43, v31, v32
	v_sub_f32_e32 v20, v22, v20
	v_add_f32_e32 v23, v43, v20
	v_fma_f32 v15, v15, 2.0, -v29
	v_fma_f32 v20, v22, 2.0, -v20
	v_sub_f32_e32 v32, v15, v20
	v_fma_f32 v65, v43, 2.0, -v23
	v_fma_f32 v42, v15, 2.0, -v32
	;; [unrolled: 1-line block ×3, first 2 shown]
	v_add_u32_e32 v22, v27, v67
	ds_read2st64_b32 v[43:44], v28 offset0:20 offset1:22
	ds_read_b32 v27, v22
	v_sub_f32_e32 v54, v47, v24
	v_fma_f32 v20, v47, 2.0, -v54
	v_sub_f32_e32 v24, v29, v54
	v_sub_f32_e32 v31, v15, v20
	v_fma_f32 v66, v29, 2.0, -v24
	v_fma_f32 v41, v15, 2.0, -v31
	s_waitcnt vmcnt(3)
	v_mul_f32_e32 v15, v18, v36
	v_mul_f32_e32 v47, v34, v60
	s_waitcnt vmcnt(2)
	v_mul_f32_e32 v20, v46, v64
	s_waitcnt lgkmcnt(1)
	v_mul_f32_e32 v29, v44, v36
	v_fma_f32 v15, v35, v44, -v15
	v_fmac_f32_e32 v47, v21, v33
	v_fmac_f32_e32 v20, v19, v45
	;; [unrolled: 1-line block ×3, first 2 shown]
	v_mul_f32_e32 v21, v21, v34
	v_mul_f32_e32 v19, v19, v46
	s_waitcnt lgkmcnt(0)
	v_sub_f32_e32 v15, v27, v15
	v_sub_f32_e32 v54, v47, v20
	;; [unrolled: 1-line block ×3, first 2 shown]
	v_fma_f32 v29, v33, v60, -v21
	v_fma_f32 v19, v45, v64, -v19
	v_sub_f32_e32 v20, v15, v54
	v_sub_f32_e32 v33, v29, v19
	ds_read2st64_b32 v[35:36], v28 offset1:10
	v_fma_f32 v22, v15, 2.0, -v20
	v_fma_f32 v15, v27, 2.0, -v15
	;; [unrolled: 1-line block ×3, first 2 shown]
	v_add_f32_e32 v19, v18, v33
	v_sub_f32_e32 v29, v15, v27
	v_fma_f32 v21, v18, 2.0, -v19
	v_fma_f32 v34, v15, 2.0, -v29
	;; [unrolled: 1-line block ×4, first 2 shown]
	v_sub_f32_e32 v28, v15, v18
	v_fma_f32 v33, v15, 2.0, -v28
	s_waitcnt vmcnt(1)
	v_mul_f32_e32 v15, v17, v40
	s_waitcnt lgkmcnt(0)
	v_mul_f32_e32 v30, v38, v36
	v_fma_f32 v15, v39, v43, -v15
	v_fmac_f32_e32 v30, v14, v37
	v_mul_f32_e32 v14, v14, v38
	v_sub_f32_e32 v27, v35, v15
	s_waitcnt vmcnt(0)
	v_mul_f32_e32 v15, v51, v55
	v_fma_f32 v36, v37, v36, -v14
	v_mul_hi_u32 v37, v0, s0
	v_fmac_f32_e32 v15, v16, v50
	v_sub_f32_e32 v44, v30, v15
	v_sub_f32_e32 v15, v27, v44
	v_fma_f32 v18, v27, 2.0, -v15
	v_mul_f32_e32 v40, v43, v40
	v_mul_f32_e32 v14, v16, v51
	v_fma_f32 v27, v35, 2.0, -v27
	v_lshrrev_b32_e32 v35, 9, v37
	v_fmac_f32_e32 v40, v17, v39
	v_fma_f32 v14, v50, v55, -v14
	v_mul_u32_u24_e32 v35, 0x280, v35
	v_sub_f32_e32 v39, v13, v40
	v_sub_f32_e32 v16, v36, v14
	v_sub_u32_e32 v46, v0, v35
	v_add_f32_e32 v14, v39, v16
	v_fma_f32 v16, v36, 2.0, -v16
	v_mad_u64_u32 v[35:36], s[4:5], s2, v46, 0
	v_sub_f32_e32 v38, v27, v16
	v_fma_f32 v16, v13, 2.0, -v39
	v_mov_b32_e32 v13, v36
	v_mad_u64_u32 v[36:37], s[4:5], s3, v46, v[13:14]
	v_fma_f32 v13, v30, 2.0, -v44
	v_lshlrev_b64 v[43:44], 3, v[48:49]
	v_sub_f32_e32 v37, v16, v13
	v_fma_f32 v17, v39, 2.0, -v14
	v_fma_f32 v39, v16, 2.0, -v37
	v_mov_b32_e32 v13, s11
	v_add_co_u32_e32 v16, vcc, s10, v43
	v_addc_co_u32_e32 v13, vcc, v13, v44, vcc
	v_fma_f32 v40, v27, 2.0, -v38
	v_add_co_u32_e32 v27, vcc, v16, v1
	v_add_u32_e32 v16, 0x280, v46
	v_addc_co_u32_e32 v30, vcc, v13, v2, vcc
	v_lshlrev_b64 v[1:2], 3, v[35:36]
	v_mad_u64_u32 v[35:36], s[4:5], s2, v16, 0
	v_add_co_u32_e32 v1, vcc, v27, v1
	v_mov_b32_e32 v13, v36
	v_mad_u64_u32 v[43:44], s[4:5], s3, v16, v[13:14]
	v_add_u32_e32 v16, 0x500, v46
	v_mad_u64_u32 v[44:45], s[4:5], s2, v16, 0
	v_addc_co_u32_e32 v2, vcc, v30, v2, vcc
	v_mov_b32_e32 v36, v43
	global_store_dwordx2 v[1:2], v[39:40], off
	v_lshlrev_b64 v[1:2], 3, v[35:36]
	v_mov_b32_e32 v13, v45
	v_mad_u64_u32 v[35:36], s[4:5], s3, v16, v[13:14]
	v_add_co_u32_e32 v1, vcc, v27, v1
	v_addc_co_u32_e32 v2, vcc, v30, v2, vcc
	global_store_dwordx2 v[1:2], v[17:18], off
	v_add_u32_e32 v18, 0x780, v46
	v_mov_b32_e32 v45, v35
	v_mad_u64_u32 v[16:17], s[4:5], s2, v18, 0
	v_add_u32_e32 v35, 0x80, v0
	v_mul_hi_u32 v36, v35, s0
	v_mov_b32_e32 v13, v17
	v_lshlrev_b64 v[1:2], 3, v[44:45]
	v_mad_u64_u32 v[17:18], s[4:5], s3, v18, v[13:14]
	v_lshrrev_b32_e32 v13, 9, v36
	v_mul_u32_u24_e32 v18, 0x280, v13
	v_add_co_u32_e32 v1, vcc, v27, v1
	v_sub_u32_e32 v18, v35, v18
	v_addc_co_u32_e32 v2, vcc, v30, v2, vcc
	v_mad_u32_u24 v18, v13, s1, v18
	v_mad_u64_u32 v[35:36], s[4:5], s2, v18, 0
	global_store_dwordx2 v[1:2], v[37:38], off
	v_lshlrev_b64 v[1:2], 3, v[16:17]
	v_mov_b32_e32 v13, v36
	v_add_co_u32_e32 v1, vcc, v27, v1
	v_addc_co_u32_e32 v2, vcc, v30, v2, vcc
	global_store_dwordx2 v[1:2], v[14:15], off
	v_add_u32_e32 v15, 0x280, v18
	v_mad_u64_u32 v[16:17], s[4:5], s3, v18, v[13:14]
	v_mad_u64_u32 v[13:14], s[4:5], s2, v15, 0
	v_mov_b32_e32 v36, v16
	v_add_u32_e32 v17, 0x500, v18
	v_mad_u64_u32 v[14:15], s[4:5], s3, v15, v[14:15]
	v_lshlrev_b64 v[1:2], 3, v[35:36]
	v_mad_u64_u32 v[15:16], s[4:5], s2, v17, 0
	v_add_co_u32_e32 v1, vcc, v27, v1
	v_addc_co_u32_e32 v2, vcc, v30, v2, vcc
	global_store_dwordx2 v[1:2], v[33:34], off
	v_lshlrev_b64 v[1:2], 3, v[13:14]
	v_mov_b32_e32 v13, v16
	v_mad_u64_u32 v[13:14], s[4:5], s3, v17, v[13:14]
	v_add_co_u32_e32 v1, vcc, v27, v1
	v_addc_co_u32_e32 v2, vcc, v30, v2, vcc
	v_mov_b32_e32 v16, v13
	global_store_dwordx2 v[1:2], v[21:22], off
	v_lshlrev_b64 v[1:2], 3, v[15:16]
	v_add_u32_e32 v15, 0x780, v18
	v_mad_u64_u32 v[13:14], s[4:5], s2, v15, 0
	v_add_u32_e32 v16, 0x100, v0
	v_mul_hi_u32 v17, v16, s0
	v_mad_u64_u32 v[14:15], s[4:5], s3, v15, v[14:15]
	v_add_co_u32_e32 v1, vcc, v27, v1
	v_lshrrev_b32_e32 v15, 9, v17
	v_mul_u32_u24_e32 v17, 0x280, v15
	v_sub_u32_e32 v16, v16, v17
	v_mad_u32_u24 v17, v15, s1, v16
	v_mad_u64_u32 v[15:16], s[4:5], s2, v17, 0
	v_addc_co_u32_e32 v2, vcc, v30, v2, vcc
	global_store_dwordx2 v[1:2], v[28:29], off
	v_lshlrev_b64 v[1:2], 3, v[13:14]
	v_mov_b32_e32 v13, v16
	v_mad_u64_u32 v[13:14], s[4:5], s3, v17, v[13:14]
	v_add_co_u32_e32 v1, vcc, v27, v1
	v_addc_co_u32_e32 v2, vcc, v30, v2, vcc
	v_mov_b32_e32 v16, v13
	global_store_dwordx2 v[1:2], v[19:20], off
	v_lshlrev_b64 v[1:2], 3, v[15:16]
	v_add_u32_e32 v15, 0x280, v17
	v_mad_u64_u32 v[13:14], s[4:5], s2, v15, 0
	v_add_u32_e32 v18, 0x500, v17
	v_add_co_u32_e32 v1, vcc, v27, v1
	v_mad_u64_u32 v[14:15], s[4:5], s3, v15, v[14:15]
	v_mad_u64_u32 v[15:16], s[4:5], s2, v18, 0
	v_addc_co_u32_e32 v2, vcc, v30, v2, vcc
	global_store_dwordx2 v[1:2], v[41:42], off
	v_lshlrev_b64 v[1:2], 3, v[13:14]
	v_mov_b32_e32 v13, v16
	v_mad_u64_u32 v[13:14], s[4:5], s3, v18, v[13:14]
	v_add_co_u32_e32 v1, vcc, v27, v1
	v_addc_co_u32_e32 v2, vcc, v30, v2, vcc
	v_mov_b32_e32 v16, v13
	global_store_dwordx2 v[1:2], v[65:66], off
	v_lshlrev_b64 v[1:2], 3, v[15:16]
	v_add_u32_e32 v15, 0x780, v17
	v_mad_u64_u32 v[13:14], s[4:5], s2, v15, 0
	v_add_u32_e32 v16, 0x180, v0
	v_mul_hi_u32 v17, v16, s0
	v_mad_u64_u32 v[14:15], s[4:5], s3, v15, v[14:15]
	v_add_co_u32_e32 v1, vcc, v27, v1
	v_lshrrev_b32_e32 v15, 9, v17
	v_mul_u32_u24_e32 v17, 0x280, v15
	v_sub_u32_e32 v16, v16, v17
	v_mad_u32_u24 v17, v15, s1, v16
	v_mad_u64_u32 v[15:16], s[4:5], s2, v17, 0
	v_addc_co_u32_e32 v2, vcc, v30, v2, vcc
	global_store_dwordx2 v[1:2], v[31:32], off
	v_lshlrev_b64 v[1:2], 3, v[13:14]
	v_mov_b32_e32 v13, v16
	v_mad_u64_u32 v[13:14], s[4:5], s3, v17, v[13:14]
	v_add_co_u32_e32 v1, vcc, v27, v1
	v_addc_co_u32_e32 v2, vcc, v30, v2, vcc
	v_mov_b32_e32 v16, v13
	global_store_dwordx2 v[1:2], v[23:24], off
	v_lshlrev_b64 v[1:2], 3, v[15:16]
	v_add_u32_e32 v15, 0x280, v17
	v_mad_u64_u32 v[13:14], s[4:5], s2, v15, 0
	v_add_u32_e32 v18, 0x500, v17
	v_add_co_u32_e32 v1, vcc, v27, v1
	v_mad_u64_u32 v[14:15], s[4:5], s3, v15, v[14:15]
	v_mad_u64_u32 v[15:16], s[4:5], s2, v18, 0
	v_addc_co_u32_e32 v2, vcc, v30, v2, vcc
	global_store_dwordx2 v[1:2], v[56:57], off
	v_lshlrev_b64 v[1:2], 3, v[13:14]
	v_mov_b32_e32 v13, v16
	v_mad_u64_u32 v[13:14], s[4:5], s3, v18, v[13:14]
	v_add_co_u32_e32 v1, vcc, v27, v1
	v_addc_co_u32_e32 v2, vcc, v30, v2, vcc
	v_mov_b32_e32 v16, v13
	global_store_dwordx2 v[1:2], v[25:26], off
	v_lshlrev_b64 v[1:2], 3, v[15:16]
	v_add_u32_e32 v15, 0x780, v17
	v_mad_u64_u32 v[13:14], s[4:5], s2, v15, 0
	v_add_co_u32_e32 v1, vcc, v27, v1
	v_mad_u64_u32 v[14:15], s[4:5], s3, v15, v[14:15]
	v_add_u32_e32 v15, 0x200, v0
	v_mul_hi_u32 v16, v15, s0
	v_addc_co_u32_e32 v2, vcc, v30, v2, vcc
	global_store_dwordx2 v[1:2], v[52:53], off
	v_lshrrev_b32_e32 v2, 9, v16
	v_lshlrev_b64 v[0:1], 3, v[13:14]
	v_mul_u32_u24_e32 v13, 0x280, v2
	v_sub_u32_e32 v13, v15, v13
	v_mad_u32_u24 v17, v2, s1, v13
	v_mad_u64_u32 v[13:14], s[0:1], s2, v17, 0
	v_add_u32_e32 v18, 0x280, v17
	v_add_co_u32_e32 v0, vcc, v27, v0
	v_mov_b32_e32 v2, v14
	v_mad_u64_u32 v[14:15], s[0:1], s3, v17, v[2:3]
	v_mad_u64_u32 v[15:16], s[0:1], s2, v18, 0
	v_addc_co_u32_e32 v1, vcc, v30, v1, vcc
	v_mov_b32_e32 v2, v16
	global_store_dwordx2 v[0:1], v[11:12], off
	v_mad_u64_u32 v[11:12], s[0:1], s3, v18, v[2:3]
	v_lshlrev_b64 v[0:1], 3, v[13:14]
	v_add_u32_e32 v13, 0x780, v17
	v_add_co_u32_e32 v0, vcc, v27, v0
	v_addc_co_u32_e32 v1, vcc, v30, v1, vcc
	v_mov_b32_e32 v16, v11
	v_add_u32_e32 v11, 0x500, v17
	global_store_dwordx2 v[0:1], v[9:10], off
	v_mad_u64_u32 v[9:10], s[0:1], s2, v11, 0
	v_lshlrev_b64 v[0:1], 3, v[15:16]
	v_mov_b32_e32 v2, v10
	v_mad_u64_u32 v[10:11], s[0:1], s3, v11, v[2:3]
	v_mad_u64_u32 v[11:12], s[0:1], s2, v13, 0
	v_add_co_u32_e32 v0, vcc, v27, v0
	v_addc_co_u32_e32 v1, vcc, v30, v1, vcc
	v_mov_b32_e32 v2, v12
	global_store_dwordx2 v[0:1], v[7:8], off
	v_mad_u64_u32 v[7:8], s[0:1], s3, v13, v[2:3]
	v_lshlrev_b64 v[0:1], 3, v[9:10]
	v_add_co_u32_e32 v0, vcc, v27, v0
	v_addc_co_u32_e32 v1, vcc, v30, v1, vcc
	v_mov_b32_e32 v12, v7
	global_store_dwordx2 v[0:1], v[5:6], off
	v_lshlrev_b64 v[0:1], 3, v[11:12]
	v_add_co_u32_e32 v0, vcc, v27, v0
	v_addc_co_u32_e32 v1, vcc, v30, v1, vcc
	global_store_dwordx2 v[0:1], v[3:4], off
.LBB0_15:
	s_endpgm
	.section	.rodata,"a",@progbits
	.p2align	6, 0x0
	.amdhsa_kernel fft_rtc_back_len2560_factors_4_4_4_10_4_wgs_128_tpt_128_halfLds_sp_op_CI_CI_sbrr_dirReg
		.amdhsa_group_segment_fixed_size 0
		.amdhsa_private_segment_fixed_size 0
		.amdhsa_kernarg_size 104
		.amdhsa_user_sgpr_count 6
		.amdhsa_user_sgpr_private_segment_buffer 1
		.amdhsa_user_sgpr_dispatch_ptr 0
		.amdhsa_user_sgpr_queue_ptr 0
		.amdhsa_user_sgpr_kernarg_segment_ptr 1
		.amdhsa_user_sgpr_dispatch_id 0
		.amdhsa_user_sgpr_flat_scratch_init 0
		.amdhsa_user_sgpr_private_segment_size 0
		.amdhsa_uses_dynamic_stack 0
		.amdhsa_system_sgpr_private_segment_wavefront_offset 0
		.amdhsa_system_sgpr_workgroup_id_x 1
		.amdhsa_system_sgpr_workgroup_id_y 0
		.amdhsa_system_sgpr_workgroup_id_z 0
		.amdhsa_system_sgpr_workgroup_info 0
		.amdhsa_system_vgpr_workitem_id 0
		.amdhsa_next_free_vgpr 84
		.amdhsa_next_free_sgpr 32
		.amdhsa_reserve_vcc 1
		.amdhsa_reserve_flat_scratch 0
		.amdhsa_float_round_mode_32 0
		.amdhsa_float_round_mode_16_64 0
		.amdhsa_float_denorm_mode_32 3
		.amdhsa_float_denorm_mode_16_64 3
		.amdhsa_dx10_clamp 1
		.amdhsa_ieee_mode 1
		.amdhsa_fp16_overflow 0
		.amdhsa_exception_fp_ieee_invalid_op 0
		.amdhsa_exception_fp_denorm_src 0
		.amdhsa_exception_fp_ieee_div_zero 0
		.amdhsa_exception_fp_ieee_overflow 0
		.amdhsa_exception_fp_ieee_underflow 0
		.amdhsa_exception_fp_ieee_inexact 0
		.amdhsa_exception_int_div_zero 0
	.end_amdhsa_kernel
	.text
.Lfunc_end0:
	.size	fft_rtc_back_len2560_factors_4_4_4_10_4_wgs_128_tpt_128_halfLds_sp_op_CI_CI_sbrr_dirReg, .Lfunc_end0-fft_rtc_back_len2560_factors_4_4_4_10_4_wgs_128_tpt_128_halfLds_sp_op_CI_CI_sbrr_dirReg
                                        ; -- End function
	.section	.AMDGPU.csdata,"",@progbits
; Kernel info:
; codeLenInByte = 11324
; NumSgprs: 36
; NumVgprs: 84
; ScratchSize: 0
; MemoryBound: 0
; FloatMode: 240
; IeeeMode: 1
; LDSByteSize: 0 bytes/workgroup (compile time only)
; SGPRBlocks: 4
; VGPRBlocks: 20
; NumSGPRsForWavesPerEU: 36
; NumVGPRsForWavesPerEU: 84
; Occupancy: 3
; WaveLimiterHint : 1
; COMPUTE_PGM_RSRC2:SCRATCH_EN: 0
; COMPUTE_PGM_RSRC2:USER_SGPR: 6
; COMPUTE_PGM_RSRC2:TRAP_HANDLER: 0
; COMPUTE_PGM_RSRC2:TGID_X_EN: 1
; COMPUTE_PGM_RSRC2:TGID_Y_EN: 0
; COMPUTE_PGM_RSRC2:TGID_Z_EN: 0
; COMPUTE_PGM_RSRC2:TIDIG_COMP_CNT: 0
	.type	__hip_cuid_9dd136e7f65d6d85,@object ; @__hip_cuid_9dd136e7f65d6d85
	.section	.bss,"aw",@nobits
	.globl	__hip_cuid_9dd136e7f65d6d85
__hip_cuid_9dd136e7f65d6d85:
	.byte	0                               ; 0x0
	.size	__hip_cuid_9dd136e7f65d6d85, 1

	.ident	"AMD clang version 19.0.0git (https://github.com/RadeonOpenCompute/llvm-project roc-6.4.0 25133 c7fe45cf4b819c5991fe208aaa96edf142730f1d)"
	.section	".note.GNU-stack","",@progbits
	.addrsig
	.addrsig_sym __hip_cuid_9dd136e7f65d6d85
	.amdgpu_metadata
---
amdhsa.kernels:
  - .args:
      - .actual_access:  read_only
        .address_space:  global
        .offset:         0
        .size:           8
        .value_kind:     global_buffer
      - .offset:         8
        .size:           8
        .value_kind:     by_value
      - .actual_access:  read_only
        .address_space:  global
        .offset:         16
        .size:           8
        .value_kind:     global_buffer
      - .actual_access:  read_only
        .address_space:  global
        .offset:         24
        .size:           8
        .value_kind:     global_buffer
      - .actual_access:  read_only
        .address_space:  global
        .offset:         32
        .size:           8
        .value_kind:     global_buffer
      - .offset:         40
        .size:           8
        .value_kind:     by_value
      - .actual_access:  read_only
        .address_space:  global
        .offset:         48
        .size:           8
        .value_kind:     global_buffer
      - .actual_access:  read_only
        .address_space:  global
        .offset:         56
        .size:           8
        .value_kind:     global_buffer
      - .offset:         64
        .size:           4
        .value_kind:     by_value
      - .actual_access:  read_only
        .address_space:  global
        .offset:         72
        .size:           8
        .value_kind:     global_buffer
      - .actual_access:  read_only
        .address_space:  global
        .offset:         80
        .size:           8
        .value_kind:     global_buffer
      - .actual_access:  read_only
        .address_space:  global
        .offset:         88
        .size:           8
        .value_kind:     global_buffer
      - .actual_access:  write_only
        .address_space:  global
        .offset:         96
        .size:           8
        .value_kind:     global_buffer
    .group_segment_fixed_size: 0
    .kernarg_segment_align: 8
    .kernarg_segment_size: 104
    .language:       OpenCL C
    .language_version:
      - 2
      - 0
    .max_flat_workgroup_size: 128
    .name:           fft_rtc_back_len2560_factors_4_4_4_10_4_wgs_128_tpt_128_halfLds_sp_op_CI_CI_sbrr_dirReg
    .private_segment_fixed_size: 0
    .sgpr_count:     36
    .sgpr_spill_count: 0
    .symbol:         fft_rtc_back_len2560_factors_4_4_4_10_4_wgs_128_tpt_128_halfLds_sp_op_CI_CI_sbrr_dirReg.kd
    .uniform_work_group_size: 1
    .uses_dynamic_stack: false
    .vgpr_count:     84
    .vgpr_spill_count: 0
    .wavefront_size: 64
amdhsa.target:   amdgcn-amd-amdhsa--gfx906
amdhsa.version:
  - 1
  - 2
...

	.end_amdgpu_metadata
